;; amdgpu-corpus repo=ROCm/rocFFT kind=compiled arch=gfx1201 opt=O3
	.text
	.amdgcn_target "amdgcn-amd-amdhsa--gfx1201"
	.amdhsa_code_object_version 6
	.protected	bluestein_single_back_len1386_dim1_half_op_CI_CI ; -- Begin function bluestein_single_back_len1386_dim1_half_op_CI_CI
	.globl	bluestein_single_back_len1386_dim1_half_op_CI_CI
	.p2align	8
	.type	bluestein_single_back_len1386_dim1_half_op_CI_CI,@function
bluestein_single_back_len1386_dim1_half_op_CI_CI: ; @bluestein_single_back_len1386_dim1_half_op_CI_CI
; %bb.0:
	s_load_b128 s[16:19], s[0:1], 0x28
	v_mul_u32_u24_e32 v1, 0x11c, v0
	s_mov_b32 s2, exec_lo
	v_mov_b32_e32 v13, 0
	s_delay_alu instid0(VALU_DEP_2) | instskip(NEXT) | instid1(VALU_DEP_1)
	v_lshrrev_b32_e32 v1, 16, v1
	v_add_nc_u32_e32 v12, ttmp9, v1
	s_wait_kmcnt 0x0
	s_delay_alu instid0(VALU_DEP_1)
	v_cmpx_gt_u64_e64 s[16:17], v[12:13]
	s_cbranch_execz .LBB0_18
; %bb.1:
	s_clause 0x1
	s_load_b128 s[4:7], s[0:1], 0x18
	s_load_b128 s[8:11], s[0:1], 0x0
	v_mul_lo_u16 v1, 0xe7, v1
	s_delay_alu instid0(VALU_DEP_1) | instskip(NEXT) | instid1(VALU_DEP_1)
	v_sub_nc_u16 v8, v0, v1
	v_and_b32_e32 v40, 0xffff, v8
	s_wait_kmcnt 0x0
	s_load_b128 s[12:15], s[4:5], 0x0
	s_wait_kmcnt 0x0
	v_mad_co_u64_u32 v[0:1], null, s14, v12, 0
	v_mad_co_u64_u32 v[2:3], null, s12, v40, 0
	s_mul_u64 s[2:3], s[12:13], 0xad4
	s_mul_i32 s4, s13, 0xfffff8c8
	s_delay_alu instid0(SALU_CYCLE_1) | instskip(NEXT) | instid1(VALU_DEP_1)
	s_sub_co_i32 s4, s4, s12
	v_mad_co_u64_u32 v[4:5], null, s15, v12, v[1:2]
	s_delay_alu instid0(VALU_DEP_1) | instskip(NEXT) | instid1(VALU_DEP_3)
	v_mov_b32_e32 v1, v4
	v_mad_co_u64_u32 v[5:6], null, s13, v40, v[3:4]
	v_lshlrev_b32_e32 v47, 2, v40
	v_lshlrev_b32_e32 v53, 3, v40
	s_delay_alu instid0(VALU_DEP_4)
	v_lshlrev_b64_e32 v[0:1], 2, v[0:1]
	global_load_b32 v43, v47, s[8:9] offset:2772
	v_mov_b32_e32 v3, v5
	s_clause 0x1
	global_load_b32 v44, v47, s[8:9]
	global_load_b32 v41, v47, s[8:9] offset:924
	v_add_co_u32 v0, vcc_lo, s18, v0
	v_add_co_ci_u32_e32 v1, vcc_lo, s19, v1, vcc_lo
	v_lshlrev_b64_e32 v[2:3], 2, v[2:3]
	s_delay_alu instid0(VALU_DEP_1) | instskip(SKIP_1) | instid1(VALU_DEP_2)
	v_add_co_u32 v0, vcc_lo, v0, v2
	s_wait_alu 0xfffd
	v_add_co_ci_u32_e32 v1, vcc_lo, v1, v3, vcc_lo
	s_delay_alu instid0(VALU_DEP_2) | instskip(SKIP_1) | instid1(VALU_DEP_2)
	v_add_co_u32 v2, vcc_lo, v0, s2
	s_wait_alu 0xfffd
	v_add_co_ci_u32_e32 v3, vcc_lo, s3, v1, vcc_lo
	global_load_b32 v9, v[0:1], off
	s_clause 0x2
	global_load_b32 v38, v47, s[8:9] offset:3696
	global_load_b32 v34, v47, s[8:9] offset:4620
	global_load_b32 v36, v47, s[8:9] offset:1848
	v_mad_co_u64_u32 v[4:5], null, 0xfffff8c8, s12, v[2:3]
	s_delay_alu instid0(VALU_DEP_1) | instskip(NEXT) | instid1(VALU_DEP_2)
	v_add_nc_u32_e32 v5, s4, v5
	v_add_co_u32 v0, vcc_lo, v4, s2
	s_clause 0x1
	global_load_b32 v2, v[2:3], off
	global_load_b32 v3, v[4:5], off
	s_wait_alu 0xfffd
	v_add_co_ci_u32_e32 v1, vcc_lo, s3, v5, vcc_lo
	s_delay_alu instid0(VALU_DEP_1) | instskip(SKIP_4) | instid1(VALU_DEP_2)
	v_mad_co_u64_u32 v[6:7], null, 0xfffff8c8, s12, v[0:1]
	global_load_b32 v4, v[0:1], off
	v_add_nc_u32_e32 v7, s4, v7
	v_add_co_u32 v0, vcc_lo, v6, s2
	s_wait_alu 0xfffd
	v_add_co_ci_u32_e32 v1, vcc_lo, s3, v7, vcc_lo
	global_load_b32 v5, v[6:7], off
	global_load_b32 v0, v[0:1], off
	v_add_nc_u32_e32 v6, 0xe40, v47
	s_load_b128 s[4:7], s[6:7], 0x0
	s_load_b64 s[2:3], s[0:1], 0x38
	v_cmp_gt_u16_e32 vcc_lo, 0xc6, v8
	s_wait_loadcnt 0xb
	v_lshrrev_b32_e32 v45, 16, v43
	s_wait_loadcnt 0xa
	v_lshrrev_b32_e32 v46, 16, v44
	;; [unrolled: 2-line block ×4, first 2 shown]
	v_lshrrev_b32_e32 v1, 16, v9
	v_mul_f16_e32 v7, v46, v9
	s_wait_loadcnt 0x5
	v_lshrrev_b32_e32 v37, 16, v36
	v_lshrrev_b32_e32 v35, 16, v34
	v_mul_f16_e32 v10, v46, v1
	v_fma_f16 v1, v44, v1, -v7
	s_delay_alu instid0(VALU_DEP_2)
	v_fmac_f16_e32 v10, v44, v9
	s_wait_loadcnt 0x4
	v_lshrrev_b32_e32 v11, 16, v2
	v_mul_f16_e32 v13, v45, v2
	s_wait_loadcnt 0x3
	v_lshrrev_b32_e32 v7, 16, v3
	v_pack_b32_f16 v1, v10, v1
	v_mul_f16_e32 v9, v45, v11
	v_fma_f16 v11, v43, v11, -v13
	v_mul_f16_e32 v13, v42, v3
	v_mul_f16_e32 v10, v42, v7
	s_delay_alu instid0(VALU_DEP_4)
	v_fmac_f16_e32 v9, v43, v2
	s_wait_loadcnt 0x2
	v_lshrrev_b32_e32 v2, 16, v4
	v_fma_f16 v7, v41, v7, -v13
	v_mul_f16_e32 v13, v39, v4
	v_fmac_f16_e32 v10, v41, v3
	s_delay_alu instid0(VALU_DEP_4) | instskip(NEXT) | instid1(VALU_DEP_3)
	v_mul_f16_e32 v14, v39, v2
	v_fma_f16 v2, v38, v2, -v13
	s_delay_alu instid0(VALU_DEP_2)
	v_fmac_f16_e32 v14, v38, v4
	s_wait_loadcnt 0x1
	v_lshrrev_b32_e32 v3, 16, v5
	s_wait_loadcnt 0x0
	v_lshrrev_b32_e32 v15, 16, v0
	v_mul_f16_e32 v13, v37, v5
	v_mul_f16_e32 v17, v35, v0
	v_pack_b32_f16 v2, v14, v2
	v_mul_f16_e32 v16, v37, v3
	v_mul_f16_e32 v18, v35, v15
	v_fma_f16 v3, v36, v3, -v13
	v_fma_f16 v4, v34, v15, -v17
                                        ; implicit-def: $vgpr17
	s_delay_alu instid0(VALU_DEP_4) | instskip(NEXT) | instid1(VALU_DEP_4)
	v_fmac_f16_e32 v16, v36, v5
	v_fmac_f16_e32 v18, v34, v0
	v_pack_b32_f16 v0, v9, v11
	v_pack_b32_f16 v5, v10, v7
	v_add_nc_u32_e32 v7, 0x700, v47
	v_pack_b32_f16 v3, v16, v3
	v_pack_b32_f16 v4, v18, v4
	ds_store_b32 v47, v0 offset:2772
	ds_store_2addr_b32 v47, v1, v5 offset1:231
	ds_store_b32 v47, v3 offset:1848
	ds_store_2addr_b32 v6, v2, v4 offset0:12 offset1:243
	global_wb scope:SCOPE_SE
	s_wait_dscnt 0x0
	s_wait_kmcnt 0x0
	s_barrier_signal -1
	s_barrier_wait -1
	global_inv scope:SCOPE_SE
	ds_load_2addr_b32 v[0:1], v47 offset1:231
	ds_load_2addr_b32 v[2:3], v7 offset0:14 offset1:245
	ds_load_2addr_b32 v[6:7], v6 offset0:12 offset1:243
	v_add_co_u32 v10, s0, 0xe7, v40
	s_wait_alu 0xf1ff
	v_add_co_ci_u32_e64 v4, null, 0, 0, s0
	global_wb scope:SCOPE_SE
	s_wait_dscnt 0x0
	v_lshlrev_b32_e32 v52, 3, v10
	s_barrier_signal -1
	s_barrier_wait -1
	global_inv scope:SCOPE_SE
                                        ; implicit-def: $vgpr18
	v_pk_add_f16 v5, v0, v3 neg_lo:[0,1] neg_hi:[0,1]
	v_pk_add_f16 v9, v1, v6 neg_lo:[0,1] neg_hi:[0,1]
	;; [unrolled: 1-line block ×3, first 2 shown]
	s_delay_alu instid0(VALU_DEP_3) | instskip(NEXT) | instid1(VALU_DEP_3)
	v_pk_fma_f16 v4, v0, 2.0, v5 op_sel_hi:[1,0,1] neg_lo:[0,0,1] neg_hi:[0,0,1]
	v_pk_fma_f16 v8, v1, 2.0, v9 op_sel_hi:[1,0,1] neg_lo:[0,0,1] neg_hi:[0,0,1]
	s_delay_alu instid0(VALU_DEP_3) | instskip(NEXT) | instid1(VALU_DEP_3)
	v_pk_fma_f16 v6, v2, 2.0, v7 op_sel_hi:[1,0,1] neg_lo:[0,0,1] neg_hi:[0,0,1]
	v_lshrrev_b32_e32 v11, 16, v4
	s_delay_alu instid0(VALU_DEP_3) | instskip(NEXT) | instid1(VALU_DEP_3)
	v_lshrrev_b32_e32 v16, 16, v8
	v_lshrrev_b32_e32 v15, 16, v6
	ds_store_b64 v53, v[4:5]
	ds_store_b64 v52, v[8:9]
	ds_store_b64 v53, v[6:7] offset:3696
	global_wb scope:SCOPE_SE
	s_wait_dscnt 0x0
	s_barrier_signal -1
	s_barrier_wait -1
	global_inv scope:SCOPE_SE
	s_and_saveexec_b32 s0, vcc_lo
	s_cbranch_execz .LBB0_3
; %bb.2:
	v_add_nc_u32_e32 v0, 0x600, v47
	v_add_nc_u32_e32 v1, 0xc00, v47
	ds_load_2addr_b32 v[4:5], v47 offset1:198
	ds_load_2addr_b32 v[8:9], v0 offset0:12 offset1:210
	ds_load_2addr_b32 v[6:7], v1 offset0:24 offset1:222
	ds_load_b32 v17, v47 offset:4752
	s_wait_dscnt 0x3
	v_lshrrev_b32_e32 v11, 16, v4
	s_wait_dscnt 0x2
	v_lshrrev_b32_e32 v16, 16, v8
	;; [unrolled: 2-line block ×4, first 2 shown]
.LBB0_3:
	s_wait_alu 0xfffe
	s_or_b32 exec_lo, exec_lo, s0
	v_and_b32_e32 v49, 1, v40
	v_lshrrev_b32_e32 v19, 16, v5
	v_lshrrev_b32_e32 v21, 16, v7
	;; [unrolled: 1-line block ×3, first 2 shown]
	s_delay_alu instid0(VALU_DEP_4) | instskip(NEXT) | instid1(VALU_DEP_1)
	v_mul_u32_u24_e32 v0, 6, v49
	v_lshlrev_b32_e32 v13, 2, v0
	s_clause 0x1
	global_load_b128 v[0:3], v13, s[10:11]
	global_load_b64 v[13:14], v13, s[10:11] offset:16
	global_wb scope:SCOPE_SE
	s_wait_loadcnt 0x0
	s_barrier_signal -1
	s_barrier_wait -1
	global_inv scope:SCOPE_SE
	v_lshrrev_b32_e32 v58, 16, v0
	v_lshrrev_b32_e32 v59, 16, v1
	;; [unrolled: 1-line block ×6, first 2 shown]
	v_mul_f16_e32 v22, v19, v58
	v_mul_f16_e32 v23, v5, v58
	;; [unrolled: 1-line block ×12, first 2 shown]
	v_fma_f16 v5, v5, v0, -v22
	v_fmac_f16_e32 v23, v19, v0
	v_fma_f16 v8, v8, v1, -v24
	v_fmac_f16_e32 v25, v16, v1
	v_fma_f16 v24, v6, v3, -v28
	v_fma_f16 v6, v17, v14, -v32
	v_fmac_f16_e32 v33, v18, v14
	v_fma_f16 v7, v7, v13, -v30
	v_fmac_f16_e32 v31, v21, v13
	;; [unrolled: 2-line block ×3, first 2 shown]
	v_fmac_f16_e32 v29, v15, v3
	v_add_f16_e32 v9, v5, v6
	v_add_f16_e32 v17, v23, v33
	;; [unrolled: 1-line block ×4, first 2 shown]
	v_sub_f16_e32 v19, v5, v6
	v_sub_f16_e32 v6, v23, v33
	;; [unrolled: 1-line block ×4, first 2 shown]
	v_add_f16_e32 v5, v22, v24
	v_add_f16_e32 v7, v27, v29
	v_sub_f16_e32 v8, v24, v22
	v_sub_f16_e32 v18, v29, v27
	v_add_f16_e32 v23, v16, v9
	v_add_f16_e32 v24, v20, v17
	v_sub_f16_e32 v26, v9, v5
	v_sub_f16_e32 v27, v17, v7
	v_add_f16_e32 v28, v8, v21
	v_add_f16_e32 v29, v18, v15
	v_sub_f16_e32 v25, v8, v21
	v_sub_f16_e32 v22, v18, v15
	v_sub_f16_e32 v8, v19, v8
	v_sub_f16_e32 v18, v6, v18
	v_add_f16_e32 v23, v5, v23
	v_add_f16_e32 v50, v7, v24
	v_sub_f16_e32 v32, v5, v16
	v_sub_f16_e32 v33, v7, v20
	v_add_f16_e32 v48, v28, v19
	v_mul_f16_e32 v28, 0x3a52, v26
	v_mul_f16_e32 v30, 0x3a52, v27
	;; [unrolled: 1-line block ×4, first 2 shown]
	v_add_f16_e32 v4, v4, v23
	v_add_f16_e32 v5, v11, v50
	;; [unrolled: 1-line block ×3, first 2 shown]
	v_fmamk_f16 v11, v32, 0x2b26, v28
	v_fmamk_f16 v18, v33, 0x2b26, v30
	;; [unrolled: 1-line block ×6, first 2 shown]
	v_lshrrev_b32_e32 v50, 1, v40
	v_fmac_f16_e32 v7, 0x370e, v48
	v_fmac_f16_e32 v8, 0x370e, v29
	v_add_f16_e32 v11, v11, v24
	v_add_f16_e32 v18, v18, v26
	s_delay_alu instid0(VALU_DEP_2) | instskip(NEXT) | instid1(VALU_DEP_2)
	v_sub_f16_e32 v23, v11, v8
	v_add_f16_e32 v69, v7, v18
	s_and_saveexec_b32 s0, vcc_lo
	s_cbranch_execz .LBB0_5
; %bb.4:
	v_mul_f16_e32 v32, 0x2b26, v32
	v_mul_f16_e32 v33, 0x2b26, v33
	v_sub_f16_e32 v19, v21, v19
	v_sub_f16_e32 v17, v20, v17
	;; [unrolled: 1-line block ×3, first 2 shown]
	v_mul_f16_e32 v20, 0xb846, v25
	v_sub_f16_e32 v6, v15, v6
	v_mul_f16_e32 v15, 0xb846, v22
	v_mul_f16_e32 v48, 0x370e, v48
	v_fma_f16 v21, v19, 0xbb00, -v31
	v_fma_f16 v25, v17, 0xb9e0, -v30
	;; [unrolled: 1-line block ×6, first 2 shown]
	v_mul_f16_e32 v16, 0x370e, v29
	v_fma_f16 v27, v6, 0xbb00, -v27
	v_fma_f16 v6, v6, 0x3b00, -v15
	v_add_f16_e32 v21, v48, v21
	v_add_f16_e32 v22, v25, v26
	v_add_f16_e32 v25, v28, v24
	v_add_f16_e32 v17, v17, v26
	v_add_f16_e32 v19, v48, v19
	v_add_f16_e32 v9, v9, v24
	v_mul_u32_u24_e32 v24, 14, v50
	v_add_f16_e32 v15, v16, v27
	v_add_f16_e32 v6, v16, v6
	;; [unrolled: 1-line block ×3, first 2 shown]
	v_sub_f16_e32 v26, v17, v19
	v_add_f16_e32 v17, v19, v17
	v_sub_f16_e32 v19, v22, v21
	v_or_b32_e32 v21, v24, v49
	v_sub_f16_e32 v7, v18, v7
	v_add_f16_e32 v8, v8, v11
	v_add_f16_e32 v27, v6, v9
	;; [unrolled: 1-line block ×3, first 2 shown]
	v_sub_f16_e32 v6, v9, v6
	v_sub_f16_e32 v20, v25, v15
	v_lshlrev_b32_e32 v9, 2, v21
	v_perm_b32 v4, v5, v4, 0x5040100
	v_pack_b32_f16 v5, v8, v7
	v_pack_b32_f16 v7, v11, v19
	;; [unrolled: 1-line block ×5, first 2 shown]
	v_perm_b32 v15, v69, v23, 0x5040100
	ds_store_2addr_b32 v9, v4, v5 offset1:2
	ds_store_2addr_b32 v9, v7, v6 offset0:4 offset1:6
	ds_store_2addr_b32 v9, v8, v11 offset0:8 offset1:10
	ds_store_b32 v9, v15 offset:48
.LBB0_5:
	s_wait_alu 0xfffe
	s_or_b32 exec_lo, exec_lo, s0
	v_lshrrev_b16 v4, 1, v40
	v_lshrrev_b16 v5, 1, v10
	global_wb scope:SCOPE_SE
	s_wait_dscnt 0x0
	s_barrier_signal -1
	s_barrier_wait -1
	v_and_b32_e32 v4, 0x7f, v4
	v_and_b32_e32 v5, 0xffff, v5
	global_inv scope:SCOPE_SE
	v_add_nc_u32_e32 v7, 0xe40, v47
	ds_load_2addr_b32 v[27:28], v47 offset1:231
	v_mul_lo_u16 v6, 0x93, v4
	v_mul_u32_u24_e32 v5, 0x4925, v5
	v_lshlrev_b32_e32 v33, 1, v40
                                        ; implicit-def: $vgpr85
                                        ; implicit-def: $vgpr84
                                        ; implicit-def: $vgpr86
                                        ; implicit-def: $vgpr83
                                        ; implicit-def: $vgpr87
	s_delay_alu instid0(VALU_DEP_3) | instskip(NEXT) | instid1(VALU_DEP_3)
	v_lshrrev_b16 v9, 10, v6
	v_lshrrev_b32_e32 v11, 17, v5
	s_delay_alu instid0(VALU_DEP_2) | instskip(NEXT) | instid1(VALU_DEP_2)
	v_mul_lo_u16 v5, v9, 14
	v_mul_lo_u16 v6, v11, 14
	v_and_b32_e32 v9, 0xffff, v9
	s_delay_alu instid0(VALU_DEP_3) | instskip(NEXT) | instid1(VALU_DEP_3)
	v_sub_nc_u16 v5, v40, v5
	v_sub_nc_u16 v10, v10, v6
	s_delay_alu instid0(VALU_DEP_3)
	v_mul_u32_u24_e32 v9, 42, v9
	s_wait_dscnt 0x0
	v_lshrrev_b32_e32 v71, 16, v27
	v_and_b32_e32 v19, 0xff, v5
	v_lshlrev_b16 v5, 3, v10
	v_mad_u16 v10, v11, 42, v10
	v_lshrrev_b32_e32 v70, 16, v28
	s_delay_alu instid0(VALU_DEP_4) | instskip(NEXT) | instid1(VALU_DEP_4)
	v_lshlrev_b32_e32 v6, 3, v19
	v_and_b32_e32 v5, 0xffff, v5
	s_delay_alu instid0(VALU_DEP_4)
	v_and_b32_e32 v10, 0xffff, v10
	v_add_lshl_u32 v61, v9, v19, 2
	global_load_b64 v[15:16], v6, s[10:11] offset:48
	v_add_co_u32 v5, s0, s10, v5
	s_wait_alu 0xf1ff
	v_add_co_ci_u32_e64 v6, null, s11, 0, s0
	v_lshlrev_b32_e32 v60, 2, v10
	v_add_co_u32 v25, s0, s8, v47
	global_load_b64 v[17:18], v[5:6], off offset:48
	v_add_nc_u32_e32 v5, 0x700, v47
	s_wait_alu 0xf1ff
	v_add_co_ci_u32_e64 v26, null, s9, 0, s0
	ds_load_2addr_b32 v[5:6], v5 offset0:14 offset1:245
	ds_load_2addr_b32 v[7:8], v7 offset0:12 offset1:243
	v_cmp_gt_u16_e64 s0, 0x7e, v40
	global_wb scope:SCOPE_SE
	s_wait_loadcnt_dscnt 0x0
	s_barrier_signal -1
	s_barrier_wait -1
	global_inv scope:SCOPE_SE
	v_lshrrev_b32_e32 v11, 16, v5
	v_lshrrev_b32_e32 v20, 16, v7
	;; [unrolled: 1-line block ×6, first 2 shown]
	s_delay_alu instid0(VALU_DEP_2) | instskip(SKIP_1) | instid1(VALU_DEP_3)
	v_mul_f16_e32 v9, v11, v62
	v_mul_f16_e32 v10, v5, v62
	;; [unrolled: 1-line block ×4, first 2 shown]
	v_lshrrev_b32_e32 v65, 16, v17
	v_lshrrev_b32_e32 v64, 16, v18
	v_fma_f16 v5, v5, v15, -v9
	v_fmac_f16_e32 v10, v11, v15
	v_fma_f16 v7, v7, v16, -v19
	v_mul_f16_e32 v9, v21, v65
	v_mul_f16_e32 v11, v6, v65
	;; [unrolled: 1-line block ×4, first 2 shown]
	v_fmac_f16_e32 v24, v20, v16
	v_fma_f16 v6, v6, v17, -v9
	v_fmac_f16_e32 v11, v21, v17
	v_fma_f16 v8, v8, v18, -v19
	v_fmac_f16_e32 v31, v22, v18
	v_add_f16_e32 v9, v27, v5
	v_add_f16_e32 v19, v5, v7
	v_sub_f16_e32 v20, v10, v24
	v_add_f16_e32 v22, v71, v10
	v_add_f16_e32 v10, v10, v24
	;; [unrolled: 1-line block ×3, first 2 shown]
	v_fma_f16 v29, -0.5, v19, v27
	v_add_f16_e32 v9, v6, v8
	v_add_f16_e32 v19, v70, v11
	v_fmac_f16_e32 v71, -0.5, v10
	v_sub_f16_e32 v10, v11, v31
	v_add_f16_e32 v11, v11, v31
	v_sub_f16_e32 v5, v5, v7
	v_add_f16_e32 v7, v28, v6
	v_sub_f16_e32 v6, v6, v8
	v_fmac_f16_e32 v28, -0.5, v9
	v_fmac_f16_e32 v70, -0.5, v11
	v_add_f16_e32 v68, v22, v24
	v_fmamk_f16 v22, v20, 0x3aee, v29
	v_fmamk_f16 v80, v5, 0xbaee, v71
	v_fmac_f16_e32 v29, 0xbaee, v20
	v_fmac_f16_e32 v71, 0x3aee, v5
	v_add_f16_e32 v30, v7, v8
	v_add_f16_e32 v81, v19, v31
	v_fmamk_f16 v27, v10, 0x3aee, v28
	v_fmamk_f16 v82, v6, 0xbaee, v70
	v_fmac_f16_e32 v28, 0xbaee, v10
	v_fmac_f16_e32 v70, 0x3aee, v6
	v_pack_b32_f16 v5, v21, v68
	v_pack_b32_f16 v6, v22, v80
	v_pack_b32_f16 v7, v29, v71
	v_pack_b32_f16 v8, v30, v81
	v_pack_b32_f16 v9, v27, v82
	v_pack_b32_f16 v10, v28, v70
	ds_store_2addr_b32 v61, v5, v6 offset1:14
	ds_store_b32 v61, v7 offset:112
	ds_store_2addr_b32 v60, v8, v9 offset1:14
	ds_store_b32 v60, v10 offset:112
	global_wb scope:SCOPE_SE
	s_wait_dscnt 0x0
	s_barrier_signal -1
	s_barrier_wait -1
	global_inv scope:SCOPE_SE
                                        ; implicit-def: $vgpr31
	s_and_saveexec_b32 s1, s0
	s_cbranch_execz .LBB0_7
; %bb.6:
	v_add_nc_u32_e32 v5, 0x200, v47
	v_add_nc_u32_e32 v6, 0x600, v47
	;; [unrolled: 1-line block ×3, first 2 shown]
	ds_load_2addr_b32 v[21:22], v47 offset1:126
	ds_load_2addr_b32 v[29:30], v5 offset0:124 offset1:250
	v_add_nc_u32_e32 v5, 0xe00, v47
	ds_load_2addr_b32 v[27:28], v6 offset0:120 offset1:246
	ds_load_2addr_b32 v[23:24], v7 offset0:116 offset1:242
	;; [unrolled: 1-line block ×3, first 2 shown]
	ds_load_b32 v83, v47 offset:5040
	s_wait_dscnt 0x5
	v_lshrrev_b32_e32 v68, 16, v21
	v_lshrrev_b32_e32 v80, 16, v22
	s_wait_dscnt 0x4
	v_lshrrev_b32_e32 v71, 16, v29
	v_lshrrev_b32_e32 v81, 16, v30
	;; [unrolled: 3-line block ×5, first 2 shown]
	s_wait_dscnt 0x0
	v_lshrrev_b32_e32 v87, 16, v83
.LBB0_7:
	s_wait_alu 0xfffe
	s_or_b32 exec_lo, exec_lo, s1
	v_mul_lo_u16 v4, v4, 49
	s_delay_alu instid0(VALU_DEP_1) | instskip(NEXT) | instid1(VALU_DEP_1)
	v_lshrrev_b16 v51, 10, v4
	v_mul_lo_u16 v4, v51, 42
	v_and_b32_e32 v51, 0xffff, v51
	s_delay_alu instid0(VALU_DEP_2) | instskip(NEXT) | instid1(VALU_DEP_1)
	v_sub_nc_u16 v4, v40, v4
	v_and_b32_e32 v48, 0xff, v4
	s_delay_alu instid0(VALU_DEP_1)
	v_mad_co_u64_u32 v[19:20], null, v48, 40, s[10:11]
	s_clause 0x2
	global_load_b128 v[8:11], v[19:20], off offset:160
	global_load_b128 v[4:7], v[19:20], off offset:176
	global_load_b64 v[19:20], v[19:20], off offset:192
	global_wb scope:SCOPE_SE
	s_wait_loadcnt 0x0
	s_barrier_signal -1
	s_barrier_wait -1
	global_inv scope:SCOPE_SE
	v_lshrrev_b32_e32 v78, 16, v8
	v_lshrrev_b32_e32 v76, 16, v9
	;; [unrolled: 1-line block ×9, first 2 shown]
	v_mul_f16_e32 v98, v80, v78
	v_mul_f16_e32 v97, v22, v78
	;; [unrolled: 1-line block ×4, first 2 shown]
	v_lshrrev_b32_e32 v75, 16, v7
	v_mul_f16_e32 v99, v71, v76
	v_mul_f16_e32 v96, v29, v76
	;; [unrolled: 1-line block ×12, first 2 shown]
	v_fma_f16 v101, v22, v8, -v98
	v_fmac_f16_e32 v97, v80, v8
	v_fma_f16 v22, v83, v20, -v109
	v_fmac_f16_e32 v88, v87, v20
	v_mul_f16_e32 v95, v30, v74
	v_mul_f16_e32 v92, v23, v67
	;; [unrolled: 1-line block ×4, first 2 shown]
	v_fma_f16 v100, v29, v9, -v99
	v_fmac_f16_e32 v96, v71, v9
	v_fma_f16 v99, v30, v10, -v102
	v_fma_f16 v98, v27, v11, -v103
	v_fmac_f16_e32 v94, v82, v11
	v_fma_f16 v71, v28, v4, -v104
	v_fmac_f16_e32 v93, v70, v4
	v_fma_f16 v70, v23, v5, -v105
	v_fma_f16 v30, v24, v6, -v106
	v_fmac_f16_e32 v91, v85, v6
	v_fma_f16 v23, v32, v19, -v108
	v_fmac_f16_e32 v89, v86, v19
	v_sub_f16_e32 v27, v101, v22
	v_sub_f16_e32 v28, v97, v88
	v_fmac_f16_e32 v95, v81, v10
	v_fma_f16 v24, v31, v7, -v107
	v_fmac_f16_e32 v90, v84, v7
	v_add_f16_e64 v156, v101, v22
	v_add_f16_e64 v157, v97, v88
	v_sub_f16_e32 v29, v100, v23
	v_sub_f16_e32 v80, v96, v89
	;; [unrolled: 1-line block ×4, first 2 shown]
	v_mul_f16_e32 v32, 0xb853, v28
	v_mul_f16_e32 v102, 0xb853, v27
	;; [unrolled: 1-line block ×6, first 2 shown]
	v_mul_f16_e64 v130, 0xba0c, v28
	v_mul_f16_e64 v137, 0xba0c, v27
	;; [unrolled: 1-line block ×4, first 2 shown]
	v_fmac_f16_e32 v92, v69, v5
	v_add_f16_e64 v152, v100, v23
	v_add_f16_e64 v153, v96, v89
	v_sub_f16_e32 v81, v95, v90
	v_sub_f16_e32 v84, v99, v24
	v_mul_f16_e32 v69, 0xbb47, v80
	v_mul_f16_e32 v103, 0xbb47, v29
	;; [unrolled: 1-line block ×6, first 2 shown]
	v_mul_f16_e64 v131, 0x3beb, v80
	v_mul_f16_e32 v110, 0x3beb, v82
	v_mul_f16_e32 v116, 0xb853, v82
	v_mul_f16_e64 v141, 0x3beb, v29
	v_mul_f16_e64 v144, 0x3853, v80
	;; [unrolled: 1-line block ×3, first 2 shown]
	v_mul_f16_e32 v105, 0xba0c, v82
	v_mul_f16_e32 v108, 0xba0c, v85
	;; [unrolled: 1-line block ×3, first 2 shown]
	v_mul_f16_e64 v128, 0xb853, v85
	v_mul_f16_e64 v133, 0xb482, v82
	;; [unrolled: 1-line block ×5, first 2 shown]
	v_fma_f16 v27, 0x36a6, v156, v114
	v_fma_f16 v28, 0xb08e, v156, v122
	;; [unrolled: 1-line block ×3, first 2 shown]
	v_fma_f16 v82, v157, 0x3abb, -v102
	v_fma_f16 v85, v157, 0x36a6, -v117
	;; [unrolled: 1-line block ×3, first 2 shown]
	v_fma_f16 v162, 0xb93d, v156, v130
	v_fma_f16 v168, v157, 0xb93d, -v137
	v_fma_f16 v170, 0xbbad, v156, v146
	v_fma_f16 v172, v157, 0xbbad, -v158
	v_add_f16_e64 v149, v99, v24
	v_sub_f16_e32 v83, v93, v92
	v_add_f16_e64 v154, v95, v90
	v_mul_f16_e32 v111, 0x3482, v81
	v_mul_f16_e32 v121, 0x3b47, v81
	;; [unrolled: 1-line block ×6, first 2 shown]
	v_mul_f16_e64 v132, 0xb853, v81
	v_mul_f16_e64 v138, 0xb853, v84
	;; [unrolled: 1-line block ×4, first 2 shown]
	v_fma_f16 v80, 0xb93d, v152, v115
	v_fma_f16 v81, 0xbbad, v152, v123
	;; [unrolled: 1-line block ×3, first 2 shown]
	v_fma_f16 v164, v153, 0x36a6, -v103
	v_fma_f16 v165, v153, 0xb93d, -v118
	;; [unrolled: 1-line block ×3, first 2 shown]
	v_fma_f16 v167, 0xb08e, v152, v131
	v_fma_f16 v169, v153, 0xb08e, -v141
	v_fma_f16 v171, 0x3abb, v152, v144
	v_fma_f16 v173, v153, 0x3abb, -v155
	v_add_f16_e32 v27, v21, v27
	v_add_f16_e32 v28, v21, v28
	;; [unrolled: 1-line block ×5, first 2 shown]
	v_add_f16_e64 v159, v68, v159
	v_add_f16_e64 v162, v21, v162
	;; [unrolled: 1-line block ×7, first 2 shown]
	v_sub_f16_e32 v86, v71, v70
	v_mul_f16_e32 v31, 0x3853, v83
	v_mul_f16_e32 v112, 0xba0c, v83
	v_mul_f16_e32 v106, 0xb482, v83
	v_mul_f16_e64 v139, 0xbbeb, v83
	v_mul_f16_e64 v129, 0x3b47, v83
	v_fma_f16 v83, 0xbbad, v149, v111
	v_fma_f16 v84, 0x36a6, v149, v121
	;; [unrolled: 1-line block ×3, first 2 shown]
	v_fma_f16 v175, v154, 0xb08e, -v107
	v_fma_f16 v176, v154, 0xbbad, -v119
	;; [unrolled: 1-line block ×3, first 2 shown]
	v_fma_f16 v178, 0x3abb, v149, v132
	v_fma_f16 v179, v154, 0x3abb, -v138
	v_fma_f16 v180, 0xb93d, v149, v142
	v_fma_f16 v181, v154, 0xb93d, -v150
	v_add_f16_e32 v27, v80, v27
	v_add_f16_e32 v28, v81, v28
	v_add_f16_e64 v29, v163, v29
	v_add_f16_e64 v80, v164, v82
	;; [unrolled: 1-line block ×10, first 2 shown]
	v_mul_f16_e32 v109, 0xb482, v86
	v_mul_f16_e32 v113, 0x3853, v86
	;; [unrolled: 1-line block ×3, first 2 shown]
	v_mul_f16_e64 v136, 0x3b47, v86
	v_mul_f16_e64 v147, 0xbbeb, v86
	v_fma_f16 v86, 0xb08e, v145, v110
	v_fma_f16 v87, 0x3abb, v145, v116
	;; [unrolled: 1-line block ×3, first 2 shown]
	v_fma_f16 v183, v148, 0xb93d, -v108
	v_fma_f16 v184, v148, 0xb08e, -v120
	;; [unrolled: 1-line block ×3, first 2 shown]
	v_fma_f16 v186, 0xbbad, v145, v133
	v_fma_f16 v187, v148, 0xbbad, -v140
	v_fma_f16 v188, 0x36a6, v145, v143
	v_fma_f16 v189, v148, 0x36a6, -v151
	v_add_f16_e32 v27, v83, v27
	v_add_f16_e32 v28, v84, v28
	v_add_f16_e64 v29, v174, v29
	v_add_f16_e64 v80, v175, v80
	;; [unrolled: 1-line block ×8, first 2 shown]
	v_fma_f16 v160, 0x3abb, v135, v31
	v_fma_f16 v161, 0xb93d, v135, v112
	;; [unrolled: 1-line block ×3, first 2 shown]
	v_fma_f16 v191, v134, 0xbbad, -v109
	v_fma_f16 v192, v134, 0x3abb, -v113
	;; [unrolled: 1-line block ×4, first 2 shown]
	v_fma_f16 v195, 0xb08e, v135, v139
	v_fma_f16 v196, v134, 0xb08e, -v147
	v_fma_f16 v197, 0x36a6, v135, v129
	v_add_f16_e32 v27, v86, v27
	v_add_f16_e32 v28, v87, v28
	v_add_f16_e64 v86, v182, v29
	v_add_f16_e64 v80, v183, v80
	;; [unrolled: 1-line block ×18, first 2 shown]
	v_add_nc_u32_e32 v87, 0xe70, v53
	s_and_saveexec_b32 s1, s0
	s_cbranch_execz .LBB0_9
; %bb.8:
	v_add_f16_e32 v101, v21, v101
	v_add_f16_e32 v97, v68, v97
	v_mul_f16_e64 v159, 0x3abb, v156
	v_mul_f16_e64 v161, 0x36a6, v156
	v_mul_f16_e64 v163, 0xb08e, v156
	v_add_f16_e32 v100, v101, v100
	v_add_f16_e32 v96, v97, v96
	v_mul_f16_e64 v165, 0xb93d, v156
	v_mul_f16_e64 v156, 0xbbad, v156
	v_mul_f16_e64 v160, 0x3abb, v157
	;; [unrolled: 5-line block ×3, first 2 shown]
	v_mul_f16_e64 v157, 0xbbad, v157
	v_sub_f16_e64 v146, v156, v146
	v_sub_f16_e64 v130, v165, v130
	;; [unrolled: 1-line block ×4, first 2 shown]
	v_add_f16_e32 v98, v99, v98
	v_sub_f16_e64 v32, v159, v32
	v_add_f16_e32 v94, v95, v94
	v_mul_f16_e64 v167, 0x36a6, v152
	v_mul_f16_e64 v168, 0x36a6, v153
	v_add_f16_e64 v157, v158, v157
	v_add_f16_e64 v146, v21, v146
	v_add_f16_e64 v137, v137, v166
	v_add_f16_e64 v130, v21, v130
	v_add_f16_e64 v124, v124, v164
	v_add_f16_e32 v122, v21, v122
	v_add_f16_e64 v117, v117, v162
	v_add_f16_e32 v114, v21, v114
	v_add_f16_e64 v96, v102, v160
	v_add_f16_e32 v71, v98, v71
	v_add_f16_e32 v21, v21, v32
	;; [unrolled: 1-line block ×3, first 2 shown]
	v_mul_f16_e64 v169, 0xb93d, v152
	v_mul_f16_e64 v170, 0xb93d, v153
	;; [unrolled: 1-line block ×6, first 2 shown]
	v_add_f16_e64 v157, v68, v157
	v_add_f16_e64 v137, v68, v137
	v_add_f16_e32 v124, v68, v124
	v_add_f16_e32 v117, v68, v117
	;; [unrolled: 1-line block ×3, first 2 shown]
	v_add_f16_e64 v95, v103, v168
	v_sub_f16_e64 v69, v167, v69
	v_add_f16_e32 v70, v71, v70
	v_add_f16_e32 v32, v32, v92
	v_mul_f16_e64 v173, 0xb08e, v152
	v_mul_f16_e64 v174, 0xb08e, v153
	;; [unrolled: 1-line block ×10, first 2 shown]
	v_add_f16_e64 v126, v126, v172
	v_sub_f16_e64 v123, v171, v123
	v_add_f16_e64 v118, v118, v170
	v_sub_f16_e64 v115, v169, v115
	v_add_f16_e32 v68, v95, v68
	v_add_f16_e64 v71, v107, v176
	v_add_f16_e32 v21, v69, v21
	v_sub_f16_e64 v69, v175, v104
	v_add_f16_e32 v30, v70, v30
	v_add_f16_e32 v32, v32, v91
	v_mul_f16_e64 v181, 0x3abb, v149
	v_mul_f16_e64 v182, 0x3abb, v154
	;; [unrolled: 1-line block ×4, first 2 shown]
	v_add_f16_e64 v153, v155, v153
	v_sub_f16_e64 v144, v152, v144
	v_add_f16_e64 v141, v141, v174
	v_sub_f16_e64 v131, v173, v131
	v_mul_f16_e64 v185, 0xb08e, v145
	v_mul_f16_e64 v186, 0xb08e, v148
	;; [unrolled: 1-line block ×6, first 2 shown]
	v_add_f16_e32 v124, v126, v124
	v_add_f16_e64 v126, v127, v180
	v_add_f16_e32 v122, v123, v122
	v_sub_f16_e64 v121, v179, v121
	v_add_f16_e32 v117, v118, v117
	v_add_f16_e64 v118, v119, v178
	v_add_f16_e32 v114, v115, v114
	v_sub_f16_e64 v111, v177, v111
	v_add_f16_e32 v68, v71, v68
	v_add_f16_e64 v70, v108, v184
	v_add_f16_e32 v21, v69, v21
	v_add_f16_e32 v24, v30, v24
	v_sub_f16_e64 v30, v183, v105
	v_add_f16_e32 v32, v32, v90
	v_mul_f16_e64 v189, 0xbbad, v145
	v_mul_f16_e64 v190, 0xbbad, v148
	;; [unrolled: 1-line block ×4, first 2 shown]
	v_add_f16_e64 v153, v153, v157
	v_add_f16_e64 v150, v150, v154
	;; [unrolled: 1-line block ×3, first 2 shown]
	v_sub_f16_e64 v142, v149, v142
	v_add_f16_e64 v137, v141, v137
	v_add_f16_e64 v138, v138, v182
	;; [unrolled: 1-line block ×3, first 2 shown]
	v_sub_f16_e64 v131, v181, v132
	v_mul_f16_e64 v192, 0x3abb, v135
	v_mul_f16_e64 v193, 0x3abb, v134
	;; [unrolled: 1-line block ×4, first 2 shown]
	v_add_f16_e32 v124, v126, v124
	v_add_f16_e64 v126, v128, v188
	v_add_f16_e32 v121, v121, v122
	v_sub_f16_e64 v116, v187, v116
	v_add_f16_e32 v117, v118, v117
	v_add_f16_e64 v118, v120, v186
	v_add_f16_e32 v97, v111, v114
	v_sub_f16_e64 v110, v185, v110
	v_add_f16_e32 v68, v70, v68
	v_add_f16_e64 v69, v109, v191
	v_add_f16_e32 v23, v24, v23
	v_add_f16_e32 v21, v30, v21
	;; [unrolled: 1-line block ×3, first 2 shown]
	v_sub_f16_e64 v30, v158, v106
	v_mul_f16_e64 v195, 0x36a6, v135
	v_mul_f16_e64 v154, 0x36a6, v134
	;; [unrolled: 1-line block ×3, first 2 shown]
	v_add_f16_e64 v150, v150, v153
	v_add_f16_e64 v148, v151, v148
	v_mul_f16_e64 v134, 0xb08e, v134
	v_add_f16_e64 v142, v142, v144
	v_sub_f16_e64 v143, v145, v143
	v_add_f16_e64 v137, v138, v137
	v_add_f16_e64 v138, v140, v190
	;; [unrolled: 1-line block ×3, first 2 shown]
	v_sub_f16_e64 v131, v189, v133
	v_add_f16_e32 v123, v126, v124
	v_add_f16_e64 v124, v125, v194
	v_add_f16_e32 v116, v116, v121
	v_sub_f16_e64 v112, v155, v112
	v_add_f16_e32 v101, v118, v117
	v_add_f16_e64 v100, v113, v193
	v_add_f16_e32 v97, v110, v97
	v_add_f16_e32 v32, v69, v68
	;; [unrolled: 1-line block ×3, first 2 shown]
	v_mul_u32_u24_e32 v23, 0x1ce, v51
	v_add_f16_e32 v24, v24, v88
	v_add_f16_e32 v21, v30, v21
	v_sub_f16_e64 v30, v192, v31
	v_add_f16_e64 v146, v148, v150
	v_add_f16_e64 v134, v147, v134
	;; [unrolled: 1-line block ×3, first 2 shown]
	v_sub_f16_e64 v135, v135, v139
	v_add_f16_e64 v132, v138, v137
	v_add_f16_e64 v136, v136, v154
	;; [unrolled: 1-line block ×3, first 2 shown]
	v_sub_f16_e64 v128, v195, v129
	v_add_f16_e32 v119, v124, v123
	v_add_f16_e32 v31, v100, v101
	v_add_lshl_u32 v23, v23, v48, 2
	v_pack_b32_f16 v22, v22, v24
	v_pack_b32_f16 v21, v21, v32
	v_add_f16_e32 v24, v30, v97
	v_add_f16_e32 v30, v112, v116
	v_add_f16_e64 v134, v134, v146
	v_add_f16_e64 v127, v136, v132
	;; [unrolled: 1-line block ×4, first 2 shown]
	ds_store_2addr_b32 v23, v22, v21 offset1:42
	v_pack_b32_f16 v21, v24, v31
	v_pack_b32_f16 v22, v30, v119
	;; [unrolled: 1-line block ×4, first 2 shown]
	v_perm_b32 v31, v86, v85, 0x5040100
	v_perm_b32 v32, v80, v27, 0x5040100
	v_add_nc_u32_e32 v68, 0x200, v23
	v_perm_b32 v69, v81, v28, 0x5040100
	v_perm_b32 v70, v83, v29, 0x5040100
	v_add_nc_u32_e32 v71, 0x400, v23
	v_perm_b32 v88, v84, v82, 0x5040100
	ds_store_2addr_b32 v23, v21, v22 offset0:84 offset1:126
	ds_store_2addr_b32 v23, v24, v30 offset0:168 offset1:210
	ds_store_2addr_b32 v68, v31, v32 offset0:124 offset1:166
	ds_store_2addr_b32 v71, v69, v70 offset0:80 offset1:122
	ds_store_b32 v23, v88 offset:1680
.LBB0_9:
	s_wait_alu 0xfffe
	s_or_b32 exec_lo, exec_lo, s1
	v_lshlrev_b32_e32 v21, 2, v33
	global_wb scope:SCOPE_SE
	s_wait_dscnt 0x0
	s_barrier_signal -1
	s_barrier_wait -1
	global_inv scope:SCOPE_SE
	s_clause 0x1
	global_load_b64 v[21:22], v21, s[10:11] offset:1840
	global_load_b64 v[23:24], v52, s[10:11] offset:1840
	v_add_nc_u32_e32 v90, 0x700, v47
	v_add_nc_u32_e32 v91, 0xe40, v47
	ds_load_2addr_b32 v[30:31], v47 offset1:231
	ds_load_2addr_b32 v[32:33], v90 offset0:14 offset1:245
	ds_load_2addr_b32 v[88:89], v91 offset0:12 offset1:243
	s_add_nc_u64 s[8:9], s[8:9], 0x15a8
	s_wait_dscnt 0x2
	v_lshrrev_b32_e32 v93, 16, v31
	s_wait_dscnt 0x1
	v_lshrrev_b32_e32 v94, 16, v32
	;; [unrolled: 2-line block ×3, first 2 shown]
	v_lshrrev_b32_e32 v96, 16, v33
	v_lshrrev_b32_e32 v97, 16, v89
	;; [unrolled: 1-line block ×3, first 2 shown]
	s_wait_loadcnt 0x1
	v_lshrrev_b32_e32 v70, 16, v21
	v_lshrrev_b32_e32 v71, 16, v22
	s_wait_loadcnt 0x0
	v_lshrrev_b32_e32 v69, 16, v23
	v_lshrrev_b32_e32 v68, 16, v24
	v_mul_f16_e32 v98, v94, v70
	v_mul_f16_e32 v99, v32, v70
	;; [unrolled: 1-line block ×8, first 2 shown]
	v_fma_f16 v32, v32, v21, -v98
	v_fmac_f16_e32 v99, v94, v21
	v_fma_f16 v88, v88, v22, -v100
	v_fmac_f16_e32 v101, v95, v22
	;; [unrolled: 2-line block ×4, first 2 shown]
	v_add_f16_e32 v95, v32, v88
	v_add_f16_e32 v98, v99, v101
	;; [unrolled: 1-line block ×4, first 2 shown]
	v_sub_f16_e32 v102, v103, v105
	v_add_f16_e32 v103, v103, v105
	v_add_f16_e32 v94, v30, v32
	v_sub_f16_e32 v96, v99, v101
	v_add_f16_e32 v97, v92, v99
	v_sub_f16_e32 v32, v32, v88
	v_fma_f16 v30, -0.5, v95, v30
	v_fmac_f16_e32 v92, -0.5, v98
	v_add_f16_e32 v99, v31, v33
	v_sub_f16_e32 v33, v33, v89
	v_fmac_f16_e32 v31, -0.5, v100
	v_fmac_f16_e32 v93, -0.5, v103
	v_add_f16_e32 v88, v94, v88
	v_add_f16_e32 v94, v97, v101
	v_fmamk_f16 v97, v96, 0x3aee, v30
	v_fmac_f16_e32 v30, 0xbaee, v96
	v_fmamk_f16 v96, v32, 0xbaee, v92
	v_fmac_f16_e32 v92, 0x3aee, v32
	v_add_f16_e32 v89, v99, v89
	v_add_f16_e32 v95, v104, v105
	v_fmamk_f16 v32, v102, 0x3aee, v31
	v_fmamk_f16 v98, v33, 0xbaee, v93
	v_fmac_f16_e32 v31, 0xbaee, v102
	v_fmac_f16_e32 v93, 0x3aee, v33
	v_pack_b32_f16 v33, v88, v94
	v_pack_b32_f16 v88, v97, v96
	;; [unrolled: 1-line block ×6, first 2 shown]
	ds_store_b32 v47, v88 offset:1848
	ds_store_b32 v47, v30 offset:3696
	ds_store_2addr_b32 v47, v33, v89 offset1:231
	ds_store_b32 v47, v32 offset:2772
	ds_store_b32 v47, v31 offset:4620
	global_wb scope:SCOPE_SE
	s_wait_dscnt 0x0
	s_barrier_signal -1
	s_barrier_wait -1
	global_inv scope:SCOPE_SE
	global_load_b32 v30, v[25:26], off offset:5544
	v_lshlrev_b32_e32 v25, 2, v40
	s_clause 0x4
	global_load_b32 v88, v25, s[8:9] offset:924
	global_load_b32 v89, v25, s[8:9] offset:2772
	;; [unrolled: 1-line block ×5, first 2 shown]
	ds_load_2addr_b32 v[25:26], v47 offset1:231
	v_add_nc_u32_e32 v96, 0xa80, v47
	v_add_nc_u32_e32 v97, 0x380, v47
	s_wait_dscnt 0x0
	v_lshrrev_b32_e32 v31, 16, v25
	s_wait_loadcnt 0x5
	v_lshrrev_b32_e32 v32, 16, v30
	s_wait_loadcnt 0x4
	;; [unrolled: 2-line block ×4, first 2 shown]
	v_lshrrev_b32_e32 v100, 16, v92
	v_mul_f16_e32 v33, v31, v32
	v_mul_f16_e32 v32, v25, v32
	s_wait_loadcnt 0x0
	v_lshrrev_b32_e32 v101, 16, v94
	v_lshrrev_b32_e32 v102, 16, v93
	v_fma_f16 v25, v25, v30, -v33
	v_fmac_f16_e32 v32, v31, v30
	s_delay_alu instid0(VALU_DEP_1) | instskip(SKIP_4) | instid1(VALU_DEP_1)
	v_pack_b32_f16 v25, v25, v32
	ds_store_b32 v47, v25
	ds_load_2addr_b32 v[30:31], v90 offset0:14 offset1:245
	ds_load_2addr_b32 v[32:33], v91 offset0:12 offset1:243
	v_lshrrev_b32_e32 v25, 16, v26
	v_mul_f16_e32 v99, v25, v95
	v_mul_f16_e32 v95, v26, v95
	s_delay_alu instid0(VALU_DEP_2) | instskip(NEXT) | instid1(VALU_DEP_2)
	v_fma_f16 v26, v26, v88, -v99
	v_fmac_f16_e32 v95, v25, v88
	s_delay_alu instid0(VALU_DEP_1)
	v_pack_b32_f16 v26, v26, v95
	s_wait_dscnt 0x1
	v_lshrrev_b32_e32 v25, 16, v31
	v_mul_f16_e32 v88, v31, v98
	s_wait_dscnt 0x0
	v_lshrrev_b32_e32 v99, 16, v32
	v_mul_f16_e32 v103, v32, v100
	v_lshrrev_b32_e32 v104, 16, v30
	v_lshrrev_b32_e32 v106, 16, v33
	v_mul_f16_e32 v98, v25, v98
	v_fmac_f16_e32 v88, v25, v89
	v_mul_f16_e32 v25, v99, v100
	v_mul_f16_e32 v105, v30, v101
	v_fmac_f16_e32 v103, v99, v92
	v_mul_f16_e32 v99, v104, v101
	v_mul_f16_e32 v107, v33, v102
	;; [unrolled: 1-line block ×3, first 2 shown]
	v_fma_f16 v31, v31, v89, -v98
	v_fma_f16 v25, v32, v92, -v25
	v_fmac_f16_e32 v105, v104, v94
	v_fma_f16 v30, v30, v94, -v99
	v_fmac_f16_e32 v107, v106, v93
	v_fma_f16 v32, v33, v93, -v100
	v_pack_b32_f16 v31, v31, v88
	v_pack_b32_f16 v25, v25, v103
	;; [unrolled: 1-line block ×3, first 2 shown]
	s_delay_alu instid0(VALU_DEP_4)
	v_pack_b32_f16 v32, v32, v107
	ds_store_2addr_b32 v96, v31, v25 offset0:21 offset1:252
	ds_store_2addr_b32 v97, v26, v30 offset0:7 offset1:238
	ds_store_b32 v47, v32 offset:4620
	global_wb scope:SCOPE_SE
	s_wait_dscnt 0x0
	s_barrier_signal -1
	s_barrier_wait -1
	global_inv scope:SCOPE_SE
	ds_load_2addr_b32 v[88:89], v47 offset1:231
	ds_load_2addr_b32 v[30:31], v90 offset0:14 offset1:245
	ds_load_2addr_b32 v[90:91], v91 offset0:12 offset1:243
	global_wb scope:SCOPE_SE
	s_wait_dscnt 0x0
	s_barrier_signal -1
	s_barrier_wait -1
	global_inv scope:SCOPE_SE
	v_pk_add_f16 v26, v88, v31 neg_lo:[0,1] neg_hi:[0,1]
	v_pk_add_f16 v33, v89, v90 neg_lo:[0,1] neg_hi:[0,1]
	;; [unrolled: 1-line block ×3, first 2 shown]
	s_delay_alu instid0(VALU_DEP_3) | instskip(NEXT) | instid1(VALU_DEP_3)
	v_pk_fma_f16 v25, v88, 2.0, v26 op_sel_hi:[1,0,1] neg_lo:[0,0,1] neg_hi:[0,0,1]
	v_pk_fma_f16 v32, v89, 2.0, v33 op_sel_hi:[1,0,1] neg_lo:[0,0,1] neg_hi:[0,0,1]
	s_delay_alu instid0(VALU_DEP_3) | instskip(NEXT) | instid1(VALU_DEP_3)
	v_pk_fma_f16 v30, v30, 2.0, v31 op_sel_hi:[1,0,1] neg_lo:[0,0,1] neg_hi:[0,0,1]
	v_lshrrev_b32_e32 v88, 16, v25
	ds_store_b64 v53, v[25:26]
	v_lshrrev_b32_e32 v53, 16, v32
	ds_store_b64 v52, v[32:33]
	;; [unrolled: 2-line block ×3, first 2 shown]
	global_wb scope:SCOPE_SE
	s_wait_dscnt 0x0
	s_barrier_signal -1
	s_barrier_wait -1
	global_inv scope:SCOPE_SE
	s_and_saveexec_b32 s1, vcc_lo
	s_cbranch_execz .LBB0_11
; %bb.10:
	v_add_nc_u32_e32 v30, 0x600, v47
	v_add_nc_u32_e32 v31, 0xc00, v47
	ds_load_2addr_b32 v[25:26], v47 offset1:198
	ds_load_2addr_b32 v[32:33], v30 offset0:12 offset1:210
	ds_load_2addr_b32 v[30:31], v31 offset0:24 offset1:222
	ds_load_b32 v85, v47 offset:4752
	s_wait_dscnt 0x3
	v_lshrrev_b32_e32 v88, 16, v25
	s_wait_dscnt 0x2
	v_lshrrev_b32_e32 v53, 16, v32
	;; [unrolled: 2-line block ×4, first 2 shown]
.LBB0_11:
	s_wait_alu 0xfffe
	s_or_b32 exec_lo, exec_lo, s1
	v_lshrrev_b32_e32 v87, 16, v26
	v_mul_f16_e32 v89, v58, v26
	v_lshrrev_b32_e32 v91, 16, v33
	v_mul_f16_e32 v92, v57, v33
	v_mul_f16_e32 v90, v59, v53
	;; [unrolled: 1-line block ×3, first 2 shown]
	v_fma_f16 v87, v0, v87, -v89
	v_mul_f16_e32 v89, v57, v91
	v_mul_f16_e32 v59, v59, v32
	v_fmac_f16_e32 v90, v1, v32
	v_fmac_f16_e32 v58, v0, v26
	v_fma_f16 v26, v2, v91, -v92
	v_fmac_f16_e32 v89, v2, v33
	v_lshrrev_b32_e32 v2, 16, v31
	v_mul_f16_e32 v0, v55, v52
	v_fma_f16 v1, v1, v53, -v59
	v_mul_f16_e32 v32, v56, v86
	v_mul_f16_e32 v33, v56, v85
	v_mul_f16_e32 v53, v54, v2
	v_mul_f16_e32 v54, v54, v31
	v_fmac_f16_e32 v0, v3, v30
	v_mul_f16_e32 v30, v55, v30
	v_fmac_f16_e32 v32, v14, v85
	v_fma_f16 v14, v14, v86, -v33
	v_fmac_f16_e32 v53, v13, v31
	v_fma_f16 v13, v13, v2, -v54
	v_fma_f16 v3, v3, v52, -v30
	v_add_f16_e32 v30, v32, v58
	v_add_f16_e32 v52, v14, v87
	;; [unrolled: 1-line block ×4, first 2 shown]
	v_sub_f16_e32 v54, v58, v32
	v_sub_f16_e32 v2, v87, v14
	;; [unrolled: 1-line block ×3, first 2 shown]
	v_add_f16_e32 v1, v0, v89
	v_add_f16_e32 v13, v3, v26
	v_sub_f16_e32 v0, v0, v89
	v_sub_f16_e32 v3, v3, v26
	v_add_f16_e32 v14, v33, v30
	v_add_f16_e32 v26, v55, v52
	v_sub_f16_e32 v57, v90, v53
	v_sub_f16_e32 v32, v30, v1
	;; [unrolled: 1-line block ×4, first 2 shown]
	v_add_f16_e32 v85, v3, v31
	v_sub_f16_e32 v58, v3, v31
	v_sub_f16_e32 v91, v54, v0
	v_add_f16_e32 v14, v1, v14
	v_add_f16_e32 v13, v13, v26
	v_sub_f16_e32 v3, v2, v3
	v_sub_f16_e32 v89, v1, v33
	v_add_f16_e32 v56, v0, v57
	v_sub_f16_e32 v59, v0, v57
	v_add_f16_e32 v87, v85, v2
	v_add_f16_e32 v0, v25, v14
	;; [unrolled: 1-line block ×3, first 2 shown]
	v_mul_f16_e32 v86, 0x3a52, v32
	v_mul_f16_e32 v88, 0x3a52, v53
	;; [unrolled: 1-line block ×4, first 2 shown]
	v_add_f16_e32 v92, v56, v54
	v_fmamk_f16 v53, v14, 0xbcab, v0
	v_fmamk_f16 v56, v13, 0xbcab, v1
	;; [unrolled: 1-line block ×6, first 2 shown]
	global_wb scope:SCOPE_SE
	v_add_f16_e32 v13, v13, v53
	v_add_f16_e32 v32, v25, v56
	v_fmac_f16_e32 v3, 0xb70e, v87
	v_fmac_f16_e32 v14, 0xb70e, v92
	s_barrier_signal -1
	s_barrier_wait -1
	global_inv scope:SCOPE_SE
	v_sub_f16_e32 v26, v13, v3
	v_add_f16_e32 v25, v14, v32
	s_and_saveexec_b32 s1, vcc_lo
	s_cbranch_execz .LBB0_13
; %bb.12:
	v_mul_f16_e32 v89, 0x2b26, v89
	v_mul_f16_e32 v90, 0x2b26, v90
	v_sub_f16_e32 v54, v57, v54
	v_sub_f16_e32 v52, v55, v52
	;; [unrolled: 1-line block ×3, first 2 shown]
	v_mul_f16_e32 v55, 0x3846, v59
	v_sub_f16_e32 v2, v31, v2
	v_mul_f16_e32 v31, 0x3846, v58
	v_mul_f16_e32 v92, 0xb70e, v92
	;; [unrolled: 1-line block ×3, first 2 shown]
	v_fma_f16 v57, v54, 0x3b00, -v91
	v_fma_f16 v59, v52, 0xb9e0, -v88
	;; [unrolled: 1-line block ×8, first 2 shown]
	v_mul_u32_u24_e32 v50, 14, v50
	v_add_f16_e32 v57, v92, v57
	v_add_f16_e32 v58, v59, v56
	;; [unrolled: 1-line block ×8, first 2 shown]
	v_or_b32_e32 v49, v50, v49
	v_sub_f16_e32 v14, v32, v14
	v_add_f16_e32 v3, v3, v13
	v_sub_f16_e32 v55, v52, v54
	v_add_f16_e32 v56, v2, v30
	v_add_f16_e32 v52, v54, v52
	v_sub_f16_e32 v54, v58, v57
	v_add_f16_e32 v13, v31, v59
	v_sub_f16_e32 v2, v30, v2
	;; [unrolled: 2-line block ×3, first 2 shown]
	v_lshlrev_b32_e32 v30, 2, v49
	v_perm_b32 v0, v1, v0, 0x5040100
	v_pack_b32_f16 v1, v3, v14
	v_pack_b32_f16 v3, v13, v54
	;; [unrolled: 1-line block ×5, first 2 shown]
	v_perm_b32 v31, v25, v26, 0x5040100
	ds_store_2addr_b32 v30, v0, v1 offset1:2
	ds_store_2addr_b32 v30, v3, v2 offset0:4 offset1:6
	ds_store_2addr_b32 v30, v13, v14 offset0:8 offset1:10
	ds_store_b32 v30, v31 offset:48
.LBB0_13:
	s_wait_alu 0xfffe
	s_or_b32 exec_lo, exec_lo, s1
	v_add_nc_u32_e32 v0, 0x700, v47
	v_add_nc_u32_e32 v13, 0xe40, v47
	global_wb scope:SCOPE_SE
	s_wait_dscnt 0x0
	s_barrier_signal -1
	s_barrier_wait -1
	global_inv scope:SCOPE_SE
	ds_load_2addr_b32 v[2:3], v47 offset1:231
	ds_load_2addr_b32 v[0:1], v0 offset0:14 offset1:245
	ds_load_2addr_b32 v[13:14], v13 offset0:12 offset1:243
	global_wb scope:SCOPE_SE
	s_wait_dscnt 0x0
	s_barrier_signal -1
	s_barrier_wait -1
	global_inv scope:SCOPE_SE
	v_lshrrev_b32_e32 v31, 16, v2
	v_lshrrev_b32_e32 v32, 16, v0
	;; [unrolled: 1-line block ×3, first 2 shown]
	v_mul_f16_e32 v52, v62, v0
	v_lshrrev_b32_e32 v49, 16, v1
	v_lshrrev_b32_e32 v50, 16, v14
	v_mul_f16_e32 v53, v63, v13
	v_mul_f16_e32 v54, v65, v1
	;; [unrolled: 1-line block ×3, first 2 shown]
	v_fma_f16 v32, v15, v32, -v52
	v_mul_f16_e32 v52, v63, v33
	v_mul_f16_e32 v55, v64, v14
	v_fma_f16 v33, v16, v33, -v53
	v_mul_f16_e32 v53, v65, v49
	v_fma_f16 v49, v17, v49, -v54
	v_mul_f16_e32 v54, v64, v50
	v_fmac_f16_e32 v56, v15, v0
	v_fmac_f16_e32 v52, v16, v13
	v_lshrrev_b32_e32 v30, 16, v3
	v_fma_f16 v50, v18, v50, -v55
	v_fmac_f16_e32 v53, v17, v1
	v_fmac_f16_e32 v54, v18, v14
	v_add_f16_e32 v1, v32, v33
	v_add_f16_e32 v13, v56, v52
	v_sub_f16_e32 v14, v32, v33
	v_add_f16_e32 v0, v31, v32
	v_sub_f16_e32 v16, v49, v50
	v_add_f16_e32 v17, v30, v49
	v_add_f16_e32 v32, v49, v50
	;; [unrolled: 1-line block ×4, first 2 shown]
	v_fmac_f16_e32 v31, -0.5, v1
	v_sub_f16_e32 v1, v56, v52
	v_fma_f16 v13, -0.5, v13, v2
	v_add_f16_e32 v15, v0, v33
	v_add_f16_e32 v33, v3, v53
	v_fmac_f16_e32 v3, -0.5, v49
	v_fmac_f16_e32 v30, -0.5, v32
	v_sub_f16_e32 v32, v53, v54
	v_add_f16_e32 v0, v18, v52
	v_fmamk_f16 v18, v1, 0x3aee, v31
	v_fmac_f16_e32 v31, 0xbaee, v1
	v_fmamk_f16 v1, v14, 0xbaee, v13
	v_fmac_f16_e32 v13, 0x3aee, v14
	v_add_f16_e32 v14, v33, v54
	v_fmamk_f16 v2, v16, 0xbaee, v3
	v_fmac_f16_e32 v3, 0x3aee, v16
	v_add_f16_e32 v17, v17, v50
	v_fmamk_f16 v16, v32, 0x3aee, v30
	v_fmac_f16_e32 v30, 0xbaee, v32
	v_pack_b32_f16 v32, v0, v15
	v_pack_b32_f16 v33, v1, v18
	;; [unrolled: 1-line block ×6, first 2 shown]
	ds_store_2addr_b32 v61, v32, v33 offset1:14
	ds_store_b32 v61, v49 offset:112
	ds_store_2addr_b32 v60, v50, v52 offset1:14
	ds_store_b32 v60, v53 offset:112
	global_wb scope:SCOPE_SE
	s_wait_dscnt 0x0
	s_barrier_signal -1
	s_barrier_wait -1
	global_inv scope:SCOPE_SE
	s_and_saveexec_b32 s1, s0
	s_cbranch_execz .LBB0_15
; %bb.14:
	v_add_nc_u32_e32 v2, 0x200, v47
	v_add_nc_u32_e32 v3, 0x600, v47
	;; [unrolled: 1-line block ×4, first 2 shown]
	ds_load_2addr_b32 v[0:1], v47 offset1:126
	ds_load_2addr_b32 v[13:14], v2 offset0:124 offset1:250
	ds_load_2addr_b32 v[2:3], v3 offset0:120 offset1:246
	;; [unrolled: 1-line block ×4, first 2 shown]
	ds_load_b32 v82, v47 offset:5040
	s_wait_dscnt 0x3
	v_lshrrev_b32_e32 v16, 16, v2
	v_lshrrev_b32_e32 v15, 16, v0
	v_lshrrev_b32_e32 v18, 16, v1
	v_lshrrev_b32_e32 v31, 16, v13
	v_lshrrev_b32_e32 v17, 16, v14
	v_lshrrev_b32_e32 v30, 16, v3
	s_wait_dscnt 0x2
	v_lshrrev_b32_e32 v25, 16, v26
	v_lshrrev_b32_e32 v80, 16, v27
	s_wait_dscnt 0x1
	v_lshrrev_b32_e32 v81, 16, v28
	v_lshrrev_b32_e32 v83, 16, v29
	s_wait_dscnt 0x0
	v_lshrrev_b32_e32 v84, 16, v82
.LBB0_15:
	s_wait_alu 0xfffe
	s_or_b32 exec_lo, exec_lo, s1
	global_wb scope:SCOPE_SE
	s_barrier_signal -1
	s_barrier_wait -1
	global_inv scope:SCOPE_SE
	s_and_saveexec_b32 s1, s0
	s_cbranch_execz .LBB0_17
; %bb.16:
	v_mul_f16_e32 v32, v79, v82
	v_mul_f16_e32 v33, v78, v1
	;; [unrolled: 1-line block ×5, first 2 shown]
	v_fma_f16 v32, v20, v84, -v32
	v_fma_f16 v18, v8, v18, -v33
	v_mul_f16_e32 v33, v77, v29
	v_fmac_f16_e32 v49, v8, v1
	v_fmac_f16_e32 v50, v20, v82
	v_mul_f16_e32 v59, v72, v2
	v_add_f16_e32 v8, v32, v18
	v_fma_f16 v20, v19, v83, -v33
	v_fma_f16 v33, v9, v31, -v52
	v_mul_f16_e32 v31, v76, v31
	v_mul_f16_e32 v52, v77, v83
	;; [unrolled: 1-line block ×3, first 2 shown]
	v_sub_f16_e32 v54, v49, v50
	v_add_f16_e32 v55, v20, v33
	v_fmac_f16_e32 v31, v9, v13
	v_fmac_f16_e32 v52, v19, v29
	v_mul_f16_e32 v29, v74, v14
	v_fmamk_f16 v9, v54, 0x3482, v53
	v_mul_f16_e32 v13, 0x3abb, v55
	v_mul_f16_e32 v19, v75, v28
	v_sub_f16_e32 v1, v31, v52
	v_fma_f16 v29, v10, v17, -v29
	v_mul_f16_e32 v17, v74, v17
	v_add_f16_e32 v9, v15, v9
	v_fma_f16 v19, v7, v81, -v19
	v_fmamk_f16 v56, v1, 0xb853, v13
	v_mul_f16_e32 v57, v75, v81
	v_mul_f16_e32 v58, v73, v27
	v_fmac_f16_e32 v17, v10, v14
	v_fma_f16 v10, v11, v16, -v59
	v_mul_f16_e32 v14, v72, v16
	v_mul_f16_e32 v16, v73, v80
	v_add_f16_e32 v60, v19, v29
	v_fmac_f16_e32 v57, v7, v28
	v_fma_f16 v7, v6, v80, -v58
	v_fmac_f16_e32 v14, v11, v2
	v_fmac_f16_e32 v16, v6, v27
	v_add_f16_e32 v2, v56, v9
	v_mul_f16_e32 v27, v67, v26
	v_mul_f16_e32 v56, v66, v3
	v_sub_f16_e32 v61, v18, v32
	v_mul_f16_e32 v28, 0xb93d, v60
	v_sub_f16_e32 v58, v17, v57
	v_add_f16_e32 v59, v7, v10
	v_fma_f16 v27, v5, v25, -v27
	v_fma_f16 v56, v4, v30, -v56
	v_mul_f16_e32 v30, v66, v30
	v_mul_f16_e32 v25, v67, v25
	v_add_f16_e32 v62, v50, v49
	v_mul_f16_e32 v63, 0xb482, v61
	v_sub_f16_e32 v65, v33, v20
	v_fmamk_f16 v6, v58, 0x3a0c, v28
	v_mul_f16_e32 v9, 0x36a6, v59
	v_sub_f16_e32 v11, v14, v16
	v_add_f16_e32 v64, v27, v56
	v_fmac_f16_e32 v30, v4, v3
	v_fmac_f16_e32 v25, v5, v26
	v_fmamk_f16 v3, v62, 0xbbad, v63
	v_add_f16_e32 v4, v52, v31
	v_mul_f16_e32 v5, 0x3853, v65
	v_sub_f16_e32 v66, v29, v19
	v_add_f16_e32 v2, v6, v2
	v_fmamk_f16 v6, v11, 0xbb47, v9
	v_mul_f16_e32 v26, 0xb08e, v64
	v_sub_f16_e32 v67, v30, v25
	v_add_f16_e32 v3, v0, v3
	v_fmamk_f16 v72, v4, 0x3abb, v5
	v_add_f16_e32 v73, v57, v17
	v_mul_f16_e32 v74, 0xba0c, v66
	v_add_f16_e32 v49, v0, v49
	v_add_f16_e32 v2, v6, v2
	v_fmamk_f16 v6, v67, 0x3beb, v26
	v_add_f16_e32 v3, v72, v3
	v_fmamk_f16 v72, v73, 0xb93d, v74
	v_mul_f16_e32 v75, 0xb93d, v8
	v_add_f16_e32 v31, v31, v49
	v_add_f16_e32 v18, v18, v15
	;; [unrolled: 1-line block ×3, first 2 shown]
	v_sub_f16_e32 v6, v10, v7
	v_add_f16_e32 v3, v72, v3
	v_fmamk_f16 v72, v54, 0x3a0c, v75
	v_mul_f16_e32 v76, 0xb08e, v55
	v_mul_f16_e32 v49, 0xb853, v61
	v_add_f16_e32 v17, v17, v31
	v_add_f16_e32 v18, v33, v18
	;; [unrolled: 1-line block ×3, first 2 shown]
	v_mul_f16_e32 v78, 0x3b47, v6
	v_sub_f16_e32 v79, v56, v27
	v_add_f16_e32 v72, v15, v72
	v_fmamk_f16 v80, v1, 0xbbeb, v76
	v_mul_f16_e32 v81, 0x3abb, v60
	v_fmamk_f16 v31, v62, 0x3abb, v49
	v_mul_f16_e32 v33, 0xbb47, v65
	v_add_f16_e32 v14, v14, v17
	v_add_f16_e32 v17, v29, v18
	v_fmamk_f16 v82, v77, 0x36a6, v78
	v_add_f16_e32 v83, v25, v30
	v_mul_f16_e32 v84, 0xbbeb, v79
	v_add_f16_e32 v72, v80, v72
	v_fmamk_f16 v80, v58, 0x3853, v81
	v_mul_f16_e32 v85, 0xbbad, v59
	v_add_f16_e32 v18, v0, v31
	v_fmamk_f16 v29, v4, 0x36a6, v33
	v_mul_f16_e32 v31, 0xbbeb, v66
	v_add_f16_e32 v14, v30, v14
	v_add_f16_e32 v10, v10, v17
	;; [unrolled: 1-line block ×3, first 2 shown]
	v_fmamk_f16 v82, v83, 0xb08e, v84
	v_mul_f16_e32 v86, 0xba0c, v61
	v_add_f16_e32 v72, v80, v72
	v_fmamk_f16 v80, v11, 0x3482, v85
	v_mul_f16_e32 v87, 0x36a6, v64
	v_mul_f16_e32 v93, 0xb482, v6
	;; [unrolled: 1-line block ×4, first 2 shown]
	v_add_f16_e32 v18, v29, v18
	v_fmamk_f16 v29, v73, 0xb08e, v31
	v_add_f16_e32 v14, v25, v14
	v_add_f16_e32 v10, v56, v10
	v_mul_f16_e32 v6, 0xba0c, v6
	v_add_f16_e32 v3, v82, v3
	v_fmamk_f16 v82, v62, 0xb93d, v86
	v_mul_f16_e32 v88, 0x3beb, v65
	v_add_f16_e32 v72, v80, v72
	v_fmamk_f16 v80, v67, 0xbb47, v87
	v_mul_f16_e32 v89, 0xb08e, v8
	v_add_f16_e32 v18, v29, v18
	v_add_f16_e32 v14, v16, v14
	;; [unrolled: 1-line block ×3, first 2 shown]
	v_fmac_f16_e32 v53, 0xb482, v54
	v_fmamk_f16 v16, v77, 0xb93d, v6
	v_mul_f16_e32 v25, 0xb482, v79
	v_add_f16_e32 v82, v0, v82
	v_fmamk_f16 v90, v4, 0xb08e, v88
	v_mul_f16_e32 v91, 0xb853, v66
	v_add_f16_e32 v72, v80, v72
	;; [unrolled: 3-line block ×3, first 2 shown]
	v_add_f16_e32 v10, v15, v53
	v_fmac_f16_e32 v13, 0x3853, v1
	v_add_f16_e32 v16, v16, v18
	v_fmamk_f16 v18, v83, 0xbbad, v25
	v_add_f16_e32 v82, v90, v82
	v_fmamk_f16 v90, v73, 0x3abb, v91
	;; [unrolled: 2-line block ×3, first 2 shown]
	v_mul_f16_e32 v95, 0x36a6, v60
	v_add_f16_e32 v10, v13, v10
	v_fmac_f16_e32 v28, 0xba0c, v58
	v_add_f16_e32 v13, v18, v16
	v_fma_f16 v16, v62, 0xbbad, -v63
	v_add_f16_e32 v82, v90, v82
	v_fmamk_f16 v90, v77, 0xbbad, v93
	v_mul_f16_e32 v96, 0x3b47, v79
	v_add_f16_e32 v80, v94, v80
	v_fmamk_f16 v94, v58, 0xbb47, v95
	v_mul_f16_e32 v97, 0x3abb, v59
	v_add_f16_e32 v10, v28, v10
	v_fmac_f16_e32 v9, 0x3b47, v11
	v_add_f16_e32 v16, v0, v16
	v_fma_f16 v5, v4, 0x3abb, -v5
	v_fmac_f16_e32 v75, 0xba0c, v54
	v_add_f16_e32 v82, v90, v82
	v_fmamk_f16 v90, v83, 0x36a6, v96
	v_mul_f16_e32 v98, 0xbbeb, v61
	v_add_f16_e32 v80, v94, v80
	v_fmamk_f16 v94, v11, 0x3853, v97
	v_mul_f16_e32 v99, 0xb93d, v64
	v_add_f16_e32 v9, v9, v10
	v_add_f16_e32 v5, v5, v16
	v_fma_f16 v10, v73, 0xb93d, -v74
	v_add_f16_e32 v16, v15, v75
	v_fmac_f16_e32 v76, 0x3beb, v1
	v_fma_f16 v18, v62, 0xb93d, -v86
	v_add_f16_e32 v82, v90, v82
	v_fmamk_f16 v90, v62, 0xb08e, v98
	v_mul_f16_e32 v100, 0x3482, v65
	v_add_f16_e32 v80, v94, v80
	v_fmamk_f16 v94, v67, 0x3a0c, v99
	v_mul_f16_e32 v101, 0x36a6, v8
	v_add_f16_e32 v7, v19, v7
	v_add_f16_e32 v5, v10, v5
	v_fma_f16 v10, v77, 0x36a6, -v78
	v_add_f16_e32 v16, v76, v16
	v_fmac_f16_e32 v81, 0xb853, v58
	v_add_f16_e32 v18, v0, v18
	v_fma_f16 v19, v4, 0xb08e, -v88
	v_add_f16_e32 v90, v0, v90
	v_fmamk_f16 v102, v4, 0xbbad, v100
	v_mul_f16_e32 v103, 0x3b47, v66
	v_add_f16_e32 v80, v94, v80
	v_fmamk_f16 v94, v54, 0x3b47, v101
	v_mul_f16_e32 v104, 0xb93d, v55
	v_add_f16_e32 v5, v10, v5
	v_fma_f16 v10, v83, 0xb08e, -v84
	v_add_f16_e32 v16, v81, v16
	v_fmac_f16_e32 v85, 0xb482, v11
	v_add_f16_e32 v18, v19, v18
	v_fma_f16 v19, v73, 0x3abb, -v91
	v_fmac_f16_e32 v89, 0xbbeb, v54
	v_add_f16_e32 v90, v102, v90
	v_fmamk_f16 v102, v73, 0x36a6, v103
	v_add_f16_e32 v94, v15, v94
	v_fmamk_f16 v106, v1, 0x3a0c, v104
	v_mul_f16_e32 v107, 0xbbad, v60
	v_add_f16_e32 v7, v20, v7
	v_fmac_f16_e32 v26, 0xbbeb, v67
	v_add_f16_e32 v5, v10, v5
	v_add_f16_e32 v10, v85, v16
	;; [unrolled: 1-line block ×3, first 2 shown]
	v_fma_f16 v18, v77, 0xbbad, -v93
	v_add_f16_e32 v19, v15, v89
	v_fmac_f16_e32 v92, 0x3482, v1
	v_fma_f16 v20, v62, 0xb08e, -v98
	v_add_f16_e32 v90, v102, v90
	v_fmamk_f16 v102, v77, 0x3abb, v105
	v_mul_f16_e32 v108, 0xba0c, v79
	v_add_f16_e32 v94, v106, v94
	v_fmamk_f16 v106, v58, 0xb482, v107
	v_mul_f16_e32 v109, 0xb08e, v59
	v_add_f16_e32 v9, v26, v9
	v_add_f16_e32 v16, v18, v16
	v_fma_f16 v18, v83, 0x36a6, -v96
	v_add_f16_e32 v19, v92, v19
	v_fmac_f16_e32 v95, 0x3b47, v58
	v_add_f16_e32 v20, v0, v20
	v_fma_f16 v26, v4, 0xbbad, -v100
	v_fmac_f16_e32 v101, 0xbb47, v54
	v_add_f16_e32 v90, v102, v90
	v_fmamk_f16 v102, v83, 0xb93d, v108
	v_mul_f16_e32 v110, 0xbb47, v61
	v_add_f16_e32 v94, v106, v94
	v_fmamk_f16 v106, v11, 0xbbeb, v109
	v_mul_f16_e32 v111, 0x3abb, v64
	v_add_f16_e32 v16, v18, v16
	v_add_f16_e32 v18, v95, v19
	;; [unrolled: 1-line block ×3, first 2 shown]
	v_fma_f16 v20, v73, 0x36a6, -v103
	v_add_f16_e32 v26, v15, v101
	v_fmac_f16_e32 v104, 0xba0c, v1
	v_add_f16_e32 v90, v102, v90
	v_fmamk_f16 v102, v62, 0x36a6, v110
	v_mul_f16_e32 v112, 0xba0c, v65
	v_add_f16_e32 v94, v106, v94
	v_fmamk_f16 v106, v67, 0xb853, v111
	v_mul_f16_e32 v8, 0x3abb, v8
	v_add_f16_e32 v19, v20, v19
	v_fma_f16 v20, v77, 0x3abb, -v105
	v_add_f16_e32 v26, v104, v26
	v_fmac_f16_e32 v107, 0x3482, v58
	v_add_f16_e32 v102, v0, v102
	v_fmamk_f16 v113, v4, 0xb93d, v112
	v_mul_f16_e32 v114, 0x3482, v66
	v_add_f16_e32 v94, v106, v94
	v_fmamk_f16 v106, v54, 0x3853, v8
	v_mul_f16_e32 v55, 0x36a6, v55
	v_add_f16_e32 v19, v20, v19
	v_fma_f16 v20, v83, 0xb93d, -v108
	v_add_f16_e32 v26, v107, v26
	v_fmac_f16_e32 v109, 0x3beb, v11
	v_add_f16_e32 v102, v113, v102
	v_fmamk_f16 v113, v73, 0xbbad, v114
	v_add_f16_e32 v106, v15, v106
	v_fmamk_f16 v116, v1, 0x3b47, v55
	v_mul_f16_e32 v60, 0xb08e, v60
	v_fma_f16 v27, v62, 0x36a6, -v110
	v_add_f16_e32 v19, v20, v19
	v_fmac_f16_e32 v8, 0xb853, v54
	v_add_f16_e32 v20, v109, v26
	v_fma_f16 v26, v62, 0x3abb, -v49
	v_add_f16_e32 v102, v113, v102
	v_fmamk_f16 v113, v77, 0xb08e, v115
	v_mul_f16_e32 v117, 0x3853, v79
	v_add_f16_e32 v106, v116, v106
	v_fmamk_f16 v116, v58, 0x3beb, v60
	v_mul_f16_e32 v59, 0xb93d, v59
	v_add_f16_e32 v27, v0, v27
	v_fma_f16 v28, v4, 0xb93d, -v112
	v_add_f16_e32 v8, v15, v8
	v_fmac_f16_e32 v55, 0xbb47, v1
	v_add_f16_e32 v0, v0, v26
	v_fma_f16 v1, v4, 0x36a6, -v33
	v_add_f16_e32 v102, v113, v102
	v_fmamk_f16 v113, v83, 0x3abb, v117
	v_add_f16_e32 v106, v116, v106
	v_fmamk_f16 v116, v11, 0x3a0c, v59
	v_mul_f16_e32 v64, 0xbbad, v64
	v_add_f16_e32 v14, v57, v14
	v_add_f16_e32 v27, v28, v27
	v_fma_f16 v28, v73, 0xbbad, -v114
	v_add_f16_e32 v8, v55, v8
	v_fmac_f16_e32 v60, 0xbbeb, v58
	v_add_f16_e32 v0, v1, v0
	v_fma_f16 v1, v73, 0xb08e, -v31
	v_add_f16_e32 v61, v113, v102
	v_add_f16_e32 v102, v116, v106
	v_fmamk_f16 v17, v67, 0x3482, v64
	v_add_f16_e32 v14, v52, v14
	v_fmac_f16_e32 v97, 0xb853, v11
	v_add_f16_e32 v4, v28, v27
	v_fma_f16 v15, v77, 0xb08e, -v115
	v_add_f16_e32 v8, v60, v8
	v_fmac_f16_e32 v59, 0xba0c, v11
	v_add_f16_e32 v0, v1, v0
	v_fma_f16 v1, v77, 0xb93d, -v6
	v_add_f16_e32 v17, v17, v102
	v_add_f16_e32 v14, v50, v14
	;; [unrolled: 1-line block ×3, first 2 shown]
	v_mul_u32_u24_e32 v11, 0x1ce, v51
	v_fmac_f16_e32 v87, 0x3b47, v67
	v_add_f16_e32 v18, v97, v18
	v_fmac_f16_e32 v99, 0xba0c, v67
	v_fmac_f16_e32 v111, 0x3853, v67
	v_add_f16_e32 v4, v15, v4
	v_fma_f16 v6, v83, 0x3abb, -v117
	v_add_f16_e32 v8, v59, v8
	v_fmac_f16_e32 v64, 0xb482, v67
	v_add_f16_e32 v0, v1, v0
	v_fma_f16 v1, v83, 0xbbad, -v25
	v_add_lshl_u32 v11, v11, v48, 2
	v_pack_b32_f16 v7, v14, v7
	v_pack_b32_f16 v13, v13, v17
	v_add_f16_e32 v10, v87, v10
	v_add_f16_e32 v18, v99, v18
	v_add_f16_e32 v14, v111, v20
	v_add_f16_e32 v4, v6, v4
	v_add_f16_e32 v6, v64, v8
	v_add_f16_e32 v0, v1, v0
	ds_store_2addr_b32 v11, v7, v13 offset1:42
	v_pack_b32_f16 v1, v61, v94
	v_pack_b32_f16 v7, v90, v80
	v_pack_b32_f16 v8, v82, v72
	v_pack_b32_f16 v2, v3, v2
	v_pack_b32_f16 v3, v5, v9
	v_pack_b32_f16 v5, v16, v10
	v_add_nc_u32_e32 v9, 0x200, v11
	v_pack_b32_f16 v10, v19, v18
	v_pack_b32_f16 v4, v4, v14
	v_add_nc_u32_e32 v13, 0x400, v11
	v_pack_b32_f16 v0, v0, v6
	ds_store_2addr_b32 v11, v1, v7 offset0:84 offset1:126
	ds_store_2addr_b32 v11, v8, v2 offset0:168 offset1:210
	;; [unrolled: 1-line block ×4, first 2 shown]
	ds_store_b32 v11, v0 offset:1680
.LBB0_17:
	s_wait_alu 0xfffe
	s_or_b32 exec_lo, exec_lo, s1
	v_add_nc_u32_e32 v6, 0x700, v47
	v_add_nc_u32_e32 v15, 0xe40, v47
	global_wb scope:SCOPE_SE
	s_wait_dscnt 0x0
	s_barrier_signal -1
	s_barrier_wait -1
	global_inv scope:SCOPE_SE
	ds_load_2addr_b32 v[0:1], v47 offset1:231
	ds_load_2addr_b32 v[2:3], v6 offset0:14 offset1:245
	ds_load_2addr_b32 v[4:5], v15 offset0:12 offset1:243
	s_mov_b32 s8, 0x5e918c
	s_mov_b32 s9, 0x3f47a463
	s_wait_dscnt 0x2
	v_lshrrev_b32_e32 v7, 16, v0
	s_wait_dscnt 0x1
	v_lshrrev_b32_e32 v9, 16, v2
	;; [unrolled: 2-line block ×3, first 2 shown]
	v_mul_f16_e32 v14, v70, v2
	v_lshrrev_b32_e32 v11, 16, v3
	v_lshrrev_b32_e32 v13, 16, v5
	v_mul_f16_e32 v16, v71, v4
	v_mul_f16_e32 v17, v69, v3
	;; [unrolled: 1-line block ×3, first 2 shown]
	v_fma_f16 v9, v21, v9, -v14
	v_mul_f16_e32 v14, v71, v10
	v_fma_f16 v10, v22, v10, -v16
	v_mul_f16_e32 v16, v69, v11
	;; [unrolled: 2-line block ×3, first 2 shown]
	v_mul_f16_e32 v18, v68, v5
	v_fmac_f16_e32 v19, v21, v2
	v_fmac_f16_e32 v14, v22, v4
	;; [unrolled: 1-line block ×4, first 2 shown]
	v_add_f16_e32 v4, v9, v10
	v_lshrrev_b32_e32 v8, 16, v1
	v_fma_f16 v13, v24, v13, -v18
	v_add_f16_e32 v20, v19, v14
	v_add_f16_e32 v3, v7, v9
	v_add_f16_e32 v18, v0, v19
	v_fmac_f16_e32 v7, -0.5, v4
	v_sub_f16_e32 v4, v19, v14
	v_add_f16_e32 v19, v16, v17
	v_sub_f16_e32 v2, v9, v10
	v_sub_f16_e32 v5, v11, v13
	v_add_f16_e32 v9, v8, v11
	v_add_f16_e32 v11, v11, v13
	v_fma_f16 v0, -0.5, v20, v0
	v_add_f16_e32 v3, v3, v10
	v_add_f16_e32 v10, v1, v16
	v_fmac_f16_e32 v1, -0.5, v19
	v_add_f16_e32 v14, v18, v14
	v_fmamk_f16 v18, v4, 0x3aee, v7
	v_fmac_f16_e32 v7, 0xbaee, v4
	v_fmamk_f16 v4, v2, 0xbaee, v0
	v_fmac_f16_e32 v0, 0x3aee, v2
	v_fmac_f16_e32 v8, -0.5, v11
	v_sub_f16_e32 v2, v16, v17
	v_add_f16_e32 v10, v10, v17
	v_fmamk_f16 v11, v5, 0xbaee, v1
	v_fmac_f16_e32 v1, 0x3aee, v5
	v_add_f16_e32 v5, v9, v13
	v_fmamk_f16 v9, v2, 0x3aee, v8
	v_fmac_f16_e32 v8, 0xbaee, v2
	v_pack_b32_f16 v2, v14, v3
	v_pack_b32_f16 v3, v4, v18
	;; [unrolled: 1-line block ×6, first 2 shown]
	ds_store_b32 v47, v3 offset:1848
	ds_store_b32 v47, v0 offset:3696
	ds_store_2addr_b32 v47, v2, v4 offset1:231
	ds_store_b32 v47, v5 offset:2772
	ds_store_b32 v47, v1 offset:4620
	global_wb scope:SCOPE_SE
	s_wait_dscnt 0x0
	s_barrier_signal -1
	s_barrier_wait -1
	global_inv scope:SCOPE_SE
	ds_load_2addr_b32 v[2:3], v47 offset1:231
	ds_load_2addr_b32 v[0:1], v6 offset0:14 offset1:245
	s_wait_dscnt 0x1
	v_lshrrev_b32_e32 v4, 16, v2
	v_mul_f16_e32 v5, v46, v2
	s_wait_dscnt 0x0
	v_lshrrev_b32_e32 v6, 16, v1
	v_mul_f16_e32 v7, v45, v1
	v_lshrrev_b32_e32 v10, 16, v3
	v_mul_f16_e32 v8, v46, v4
	v_fma_f16 v5, v44, v4, -v5
	v_mul_f16_e32 v9, v45, v6
	v_fma_f16 v4, v43, v6, -v7
	v_mul_f16_e32 v11, v42, v3
	v_fmac_f16_e32 v8, v44, v2
	v_cvt_f32_f16_e32 v5, v5
	v_fmac_f16_e32 v9, v43, v1
	v_cvt_f32_f16_e32 v2, v4
	v_mul_f16_e32 v13, v42, v10
	v_cvt_f32_f16_e32 v8, v8
	v_cvt_f64_f32_e32 v[4:5], v5
	v_fma_f16 v14, v41, v10, -v11
	v_cvt_f64_f32_e32 v[6:7], v2
	v_fmac_f16_e32 v13, v41, v3
	v_cvt_f64_f32_e32 v[1:2], v8
	v_cvt_f32_f16_e32 v8, v9
	v_cvt_f32_f16_e32 v3, v14
	v_mad_co_u64_u32 v[10:11], null, s6, v12, 0
	v_cvt_f32_f16_e32 v19, v13
	s_delay_alu instid0(VALU_DEP_4) | instskip(NEXT) | instid1(VALU_DEP_4)
	v_cvt_f64_f32_e32 v[8:9], v8
	v_cvt_f64_f32_e32 v[17:18], v3
	v_mad_co_u64_u32 v[13:14], null, s4, v40, 0
	s_delay_alu instid0(VALU_DEP_4)
	v_cvt_f64_f32_e32 v[19:20], v19
	s_wait_alu 0xfffe
	v_mul_f64_e32 v[3:4], s[8:9], v[4:5]
	v_mov_b32_e32 v5, v11
	v_mul_f64_e32 v[6:7], s[8:9], v[6:7]
	v_mov_b32_e32 v11, v14
	v_mul_f64_e32 v[1:2], s[8:9], v[1:2]
	v_mul_f64_e32 v[8:9], s[8:9], v[8:9]
	v_and_or_b32 v3, 0x1ff, v4, v3
	v_mad_co_u64_u32 v[21:22], null, s7, v12, v[5:6]
	v_mad_co_u64_u32 v[22:23], null, s5, v40, v[11:12]
	v_and_or_b32 v6, 0x1ff, v7, v6
	v_and_or_b32 v1, 0x1ff, v2, v1
	v_lshrrev_b32_e32 v23, 8, v2
	v_bfe_u32 v24, v2, 20, 11
	v_and_or_b32 v8, 0x1ff, v9, v8
	v_lshrrev_b32_e32 v26, 8, v9
	v_mov_b32_e32 v14, v22
	v_bfe_u32 v22, v7, 20, 11
	v_mov_b32_e32 v11, v21
	v_lshrrev_b32_e32 v21, 8, v7
	v_sub_nc_u32_e32 v29, 0x3f1, v24
	v_lshlrev_b64_e32 v[12:13], 2, v[13:14]
	v_sub_nc_u32_e32 v28, 0x3f1, v22
	v_add_nc_u32_e32 v22, 0xfffffc10, v22
	v_lshlrev_b64_e32 v[10:11], 2, v[10:11]
	v_bfe_u32 v27, v9, 20, 11
	v_add_nc_u32_e32 v24, 0xfffffc10, v24
	ds_load_2addr_b32 v[15:16], v15 offset0:12 offset1:243
	v_lshrrev_b32_e32 v2, 16, v2
	v_lshrrev_b32_e32 v9, 16, v9
	v_add_co_u32 v10, vcc_lo, s2, v10
	s_wait_alu 0xfffd
	v_add_co_ci_u32_e32 v11, vcc_lo, s3, v11, vcc_lo
	v_lshrrev_b32_e32 v7, 16, v7
	s_delay_alu instid0(VALU_DEP_3) | instskip(SKIP_1) | instid1(VALU_DEP_3)
	v_add_co_u32 v10, vcc_lo, v10, v12
	s_wait_alu 0xfffd
	v_add_co_ci_u32_e32 v11, vcc_lo, v11, v13, vcc_lo
	v_cmp_ne_u32_e32 vcc_lo, 0, v3
	v_mul_f64_e32 v[12:13], s[8:9], v[17:18]
	v_mul_f64_e32 v[17:18], s[8:9], v[19:20]
	v_lshrrev_b32_e32 v19, 8, v4
	v_bfe_u32 v20, v4, 20, 11
	s_wait_alu 0xfffd
	v_cndmask_b32_e64 v3, 0, 1, vcc_lo
	v_cmp_ne_u32_e32 vcc_lo, 0, v6
	v_lshrrev_b32_e32 v4, 16, v4
	s_wait_dscnt 0x0
	v_lshrrev_b32_e32 v5, 16, v15
	v_sub_nc_u32_e32 v25, 0x3f1, v20
	v_and_or_b32 v3, 0xffe, v19, v3
	s_wait_alu 0xfffd
	v_cndmask_b32_e64 v6, 0, 1, vcc_lo
	v_cmp_ne_u32_e32 vcc_lo, 0, v1
	v_add_nc_u32_e32 v20, 0xfffffc10, v20
	v_med3_i32 v19, v25, 0, 13
	v_sub_nc_u32_e32 v25, 0x3f1, v27
	v_and_or_b32 v6, 0xffe, v21, v6
	s_wait_alu 0xfffd
	v_cndmask_b32_e64 v1, 0, 1, vcc_lo
	v_cmp_ne_u32_e32 vcc_lo, 0, v8
	v_med3_i32 v21, v28, 0, 13
	v_or_b32_e32 v28, 0x1000, v3
	v_med3_i32 v25, v25, 0, 13
	v_and_or_b32 v1, 0xffe, v23, v1
	s_wait_alu 0xfffd
	v_cndmask_b32_e64 v8, 0, 1, vcc_lo
	v_med3_i32 v23, v29, 0, 13
	v_cmp_ne_u32_e32 vcc_lo, 0, v3
	v_lshrrev_b32_e32 v33, v19, v28
	v_or_b32_e32 v31, 0x1000, v1
	v_lshl_or_b32 v29, v20, 12, v3
	v_and_or_b32 v8, 0xffe, v26, v8
	s_wait_alu 0xfffd
	v_cndmask_b32_e64 v3, 0, 1, vcc_lo
	v_or_b32_e32 v26, 0x1000, v6
	v_cmp_ne_u32_e32 vcc_lo, 0, v1
	v_lshrrev_b32_e32 v41, v23, v31
	v_lshlrev_b32_e32 v19, v19, v33
	v_lshl_or_b32 v32, v24, 12, v1
	v_or_b32_e32 v40, 0x1000, v8
	s_wait_alu 0xfffd
	v_cndmask_b32_e64 v1, 0, 1, vcc_lo
	v_lshrrev_b32_e32 v43, v21, v26
	v_lshlrev_b32_e32 v23, v23, v41
	v_cmp_ne_u32_e32 vcc_lo, v19, v28
	v_lshrrev_b32_e32 v44, v25, v40
	v_add_nc_u32_e32 v27, 0xfffffc10, v27
	v_lshlrev_b32_e32 v21, v21, v43
	v_lshl_or_b32 v30, v22, 12, v6
	s_wait_alu 0xfffd
	v_cndmask_b32_e64 v19, 0, 1, vcc_lo
	v_cmp_ne_u32_e32 vcc_lo, v23, v31
	v_lshlrev_b32_e32 v25, v25, v44
	v_lshl_or_b32 v42, v27, 12, v8
	v_lshl_or_b32 v1, v1, 9, 0x7c00
	v_or_b32_e32 v19, v33, v19
	s_wait_alu 0xfffd
	v_cndmask_b32_e64 v23, 0, 1, vcc_lo
	v_cmp_ne_u32_e32 vcc_lo, v21, v26
	v_lshl_or_b32 v3, v3, 9, 0x7c00
	v_mul_f16_e32 v14, v39, v5
	v_and_or_b32 v12, 0x1ff, v13, v12
	v_or_b32_e32 v23, v41, v23
	s_wait_alu 0xfffd
	v_cndmask_b32_e64 v21, 0, 1, vcc_lo
	v_cmp_ne_u32_e32 vcc_lo, v25, v40
	v_fmac_f16_e32 v14, v38, v15
	s_delay_alu instid0(VALU_DEP_3) | instskip(SKIP_4) | instid1(VALU_DEP_3)
	v_or_b32_e32 v21, v43, v21
	s_wait_alu 0xfffd
	v_cndmask_b32_e64 v25, 0, 1, vcc_lo
	v_cmp_gt_i32_e32 vcc_lo, 1, v24
	v_cvt_f32_f16_e32 v14, v14
	v_or_b32_e32 v25, v44, v25
	s_wait_alu 0xfffd
	v_cndmask_b32_e32 v23, v32, v23, vcc_lo
	v_cmp_gt_i32_e32 vcc_lo, 1, v20
	s_delay_alu instid0(VALU_DEP_2)
	v_and_b32_e32 v26, 7, v23
	s_wait_alu 0xfffd
	v_cndmask_b32_e32 v19, v29, v19, vcc_lo
	v_cmp_gt_i32_e32 vcc_lo, 1, v22
	v_lshrrev_b32_e32 v23, 2, v23
	v_cmp_eq_u32_e64 s0, 3, v26
	s_wait_alu 0xfffd
	v_cndmask_b32_e32 v21, v30, v21, vcc_lo
	v_cmp_gt_i32_e32 vcc_lo, 1, v27
	s_wait_alu 0xfffd
	v_cndmask_b32_e32 v25, v42, v25, vcc_lo
	v_cmp_lt_i32_e32 vcc_lo, 5, v26
	s_delay_alu instid0(VALU_DEP_2)
	v_and_b32_e32 v26, 7, v25
	v_and_b32_e32 v28, 7, v19
	v_lshrrev_b32_e32 v19, 2, v19
	s_or_b32 vcc_lo, s0, vcc_lo
	v_cmp_gt_i32_e64 s0, 31, v20
	s_wait_alu 0xfffe
	v_add_co_ci_u32_e32 v23, vcc_lo, 0, v23, vcc_lo
	v_cmp_lt_i32_e64 s1, 5, v28
	v_cmp_eq_u32_e64 s2, 3, v28
	s_delay_alu instid0(VALU_DEP_1)
	s_or_b32 vcc_lo, s2, s1
	v_cmp_eq_u32_e64 s1, 0x40f, v20
	s_wait_alu 0xfffe
	v_add_co_ci_u32_e32 v19, vcc_lo, 0, v19, vcc_lo
	v_cmp_gt_i32_e32 vcc_lo, 31, v24
	s_mul_u64 s[2:3], s[4:5], 0xad4
	s_delay_alu instid0(VALU_DEP_2)
	v_cndmask_b32_e64 v19, 0x7c00, v19, s0
	v_cmp_eq_u32_e64 s0, 0x40f, v24
	s_wait_alu 0xfffd
	v_cndmask_b32_e32 v23, 0x7c00, v23, vcc_lo
	v_cmp_lt_i32_e32 vcc_lo, 5, v26
	v_cndmask_b32_e64 v3, v19, v3, s1
	s_wait_alu 0xf1ff
	s_delay_alu instid0(VALU_DEP_3) | instskip(SKIP_3) | instid1(VALU_DEP_4)
	v_cndmask_b32_e64 v1, v23, v1, s0
	v_cmp_eq_u32_e64 s0, 3, v26
	v_lshrrev_b32_e32 v23, 2, v25
	v_and_or_b32 v3, 0x8000, v4, v3
	v_and_or_b32 v1, 0x8000, v2, v1
	s_delay_alu instid0(VALU_DEP_4) | instskip(SKIP_2) | instid1(VALU_DEP_2)
	s_or_b32 vcc_lo, s0, vcc_lo
	s_wait_alu 0xfffe
	v_add_co_ci_u32_e32 v2, vcc_lo, 0, v23, vcc_lo
	v_and_b32_e32 v1, 0xffff, v1
	v_cmp_ne_u32_e32 vcc_lo, 0, v8
	v_and_b32_e32 v8, 7, v21
	s_delay_alu instid0(VALU_DEP_3)
	v_lshl_or_b32 v20, v3, 16, v1
	v_and_or_b32 v3, 0x1ff, v18, v17
	s_wait_alu 0xfffd
	v_cndmask_b32_e64 v4, 0, 1, vcc_lo
	v_cmp_gt_i32_e32 vcc_lo, 31, v27
	v_cmp_eq_u32_e64 s0, 3, v8
	global_store_b32 v[10:11], v20, off
	v_cmp_ne_u32_e64 s1, 0, v3
	v_lshl_or_b32 v4, v4, 9, 0x7c00
	s_wait_alu 0xfffd
	v_cndmask_b32_e32 v19, 0x7c00, v2, vcc_lo
	v_cmp_lt_i32_e32 vcc_lo, 5, v8
	v_cvt_f64_f32_e32 v[1:2], v14
	s_wait_alu 0xf1ff
	v_cndmask_b32_e64 v3, 0, 1, s1
	v_cmp_eq_u32_e64 s1, 0x40f, v27
	v_lshrrev_b32_e32 v8, 8, v18
	v_bfe_u32 v14, v18, 20, 11
	s_or_b32 vcc_lo, s0, vcc_lo
	v_lshrrev_b32_e32 v20, 16, v0
	v_cndmask_b32_e64 v17, v19, v4, s1
	v_lshrrev_b32_e32 v4, 2, v21
	v_and_or_b32 v8, 0xffe, v8, v3
	v_sub_nc_u32_e32 v3, 0x3f1, v14
	v_lshrrev_b32_e32 v18, 16, v18
	s_wait_alu 0xfffe
	v_add_co_ci_u32_e32 v4, vcc_lo, 0, v4, vcc_lo
	v_cmp_ne_u32_e32 vcc_lo, 0, v6
	v_or_b32_e32 v19, 0x1000, v8
	v_med3_i32 v3, v3, 0, 13
	s_wait_alu 0xfffd
	v_cndmask_b32_e64 v6, 0, 1, vcc_lo
	v_cmp_gt_i32_e32 vcc_lo, 31, v22
	s_delay_alu instid0(VALU_DEP_3) | instskip(NEXT) | instid1(VALU_DEP_3)
	v_lshrrev_b32_e32 v21, v3, v19
	v_lshl_or_b32 v6, v6, 9, 0x7c00
	s_wait_alu 0xfffd
	v_cndmask_b32_e32 v4, 0x7c00, v4, vcc_lo
	v_cmp_eq_u32_e32 vcc_lo, 0x40f, v22
	v_lshlrev_b32_e32 v3, v3, v21
	v_bfe_u32 v22, v13, 20, 11
	s_wait_alu 0xfffd
	v_cndmask_b32_e32 v6, v4, v6, vcc_lo
	v_cmp_ne_u32_e32 vcc_lo, 0, v12
	v_mul_f16_e32 v12, v39, v15
	v_lshrrev_b32_e32 v15, 8, v13
	v_lshrrev_b32_e32 v13, 16, v13
	v_and_or_b32 v6, 0x8000, v7, v6
	s_wait_alu 0xfffd
	v_cndmask_b32_e64 v4, 0, 1, vcc_lo
	v_cmp_ne_u32_e32 vcc_lo, v3, v19
	v_fma_f16 v5, v38, v5, -v12
	v_add_nc_u32_e32 v12, 0xfffffc10, v14
	v_mul_f64_e32 v[1:2], s[8:9], v[1:2]
	v_and_or_b32 v14, 0xffe, v15, v4
	s_wait_alu 0xfffd
	v_cndmask_b32_e64 v3, 0, 1, vcc_lo
	v_sub_nc_u32_e32 v4, 0x3f1, v22
	v_cvt_f32_f16_e32 v5, v5
	v_lshl_or_b32 v19, v12, 12, v8
	v_cmp_gt_i32_e32 vcc_lo, 1, v12
	v_or_b32_e32 v15, v21, v3
	v_or_b32_e32 v21, 0x1000, v14
	v_med3_i32 v23, v4, 0, 13
	v_cvt_f64_f32_e32 v[3:4], v5
	v_and_or_b32 v5, 0x8000, v9, v17
	s_wait_alu 0xfffd
	v_cndmask_b32_e32 v9, v19, v15, vcc_lo
	v_lshrrev_b32_e32 v15, v23, v21
	s_delay_alu instid0(VALU_DEP_3) | instskip(NEXT) | instid1(VALU_DEP_3)
	v_and_b32_e32 v5, 0xffff, v5
	v_and_b32_e32 v7, 7, v9
	s_delay_alu instid0(VALU_DEP_3) | instskip(NEXT) | instid1(VALU_DEP_3)
	v_lshlrev_b32_e32 v17, v23, v15
	v_lshl_or_b32 v19, v6, 16, v5
	s_delay_alu instid0(VALU_DEP_3) | instskip(SKIP_1) | instid1(VALU_DEP_4)
	v_cmp_lt_i32_e32 vcc_lo, 5, v7
	v_mul_f16_e32 v6, v37, v20
	v_cmp_ne_u32_e64 s0, v17, v21
	v_add_nc_u32_e32 v17, 0xfffffc10, v22
	s_delay_alu instid0(VALU_DEP_3) | instskip(SKIP_1) | instid1(VALU_DEP_3)
	v_fmac_f16_e32 v6, v36, v0
	s_wait_alu 0xf1ff
	v_cndmask_b32_e64 v5, 0, 1, s0
	v_cmp_eq_u32_e64 s0, 3, v7
	v_lshrrev_b32_e32 v7, 2, v9
	v_lshl_or_b32 v9, v17, 12, v14
	v_mul_f16_e32 v0, v37, v0
	v_or_b32_e32 v5, v15, v5
	s_or_b32 vcc_lo, s0, vcc_lo
	s_wait_alu 0xfffe
	v_add_co_ci_u32_e32 v7, vcc_lo, 0, v7, vcc_lo
	v_cmp_gt_i32_e32 vcc_lo, 1, v17
	v_and_or_b32 v1, 0x1ff, v2, v1
	v_lshrrev_b32_e32 v21, 8, v2
	v_bfe_u32 v22, v2, 20, 11
	v_fma_f16 v0, v36, v20, -v0
	s_wait_alu 0xfffd
	v_cndmask_b32_e32 v9, v9, v5, vcc_lo
	v_cvt_f32_f16_e32 v5, v6
	v_cmp_gt_i32_e32 vcc_lo, 31, v12
	v_cmp_ne_u32_e64 s0, 0, v1
	v_mul_f64_e32 v[3:4], s[8:9], v[3:4]
	v_and_b32_e32 v15, 7, v9
	v_cvt_f64_f32_e32 v[5:6], v5
	s_wait_alu 0xfffd
	v_cndmask_b32_e32 v7, 0x7c00, v7, vcc_lo
	v_cmp_ne_u32_e32 vcc_lo, 0, v8
	s_wait_alu 0xf1ff
	v_cndmask_b32_e64 v1, 0, 1, s0
	v_cmp_eq_u32_e64 s0, 3, v15
	v_lshrrev_b32_e32 v9, 2, v9
	v_cvt_f32_f16_e32 v0, v0
	s_wait_alu 0xfffd
	v_cndmask_b32_e64 v8, 0, 1, vcc_lo
	v_cmp_lt_i32_e32 vcc_lo, 5, v15
	v_and_or_b32 v15, 0xffe, v21, v1
	v_sub_nc_u32_e32 v1, 0x3f1, v22
	v_lshrrev_b32_e32 v2, 16, v2
	v_lshl_or_b32 v8, v8, 9, 0x7c00
	s_or_b32 vcc_lo, s0, vcc_lo
	v_or_b32_e32 v21, 0x1000, v15
	s_wait_alu 0xfffe
	v_add_co_ci_u32_e32 v9, vcc_lo, 0, v9, vcc_lo
	v_cmp_ne_u32_e32 vcc_lo, 0, v14
	v_med3_i32 v1, v1, 0, 13
	s_mul_i32 s0, s5, 0xfffff8c8
	s_wait_alu 0xfffe
	s_sub_co_i32 s5, s0, s4
	s_wait_alu 0xfffd
	v_cndmask_b32_e64 v14, 0, 1, vcc_lo
	v_cmp_gt_i32_e32 vcc_lo, 31, v17
	v_lshrrev_b32_e32 v23, v1, v21
	s_delay_alu instid0(VALU_DEP_3)
	v_lshl_or_b32 v14, v14, 9, 0x7c00
	s_wait_alu 0xfffd
	v_cndmask_b32_e32 v9, 0x7c00, v9, vcc_lo
	v_cmp_eq_u32_e32 vcc_lo, 0x40f, v12
	s_wait_alu 0xfffd
	v_dual_cndmask_b32 v12, v7, v8 :: v_dual_lshlrev_b32 v1, v1, v23
	v_cmp_eq_u32_e32 vcc_lo, 0x40f, v17
	v_and_or_b32 v3, 0x1ff, v4, v3
	v_mul_f64_e32 v[5:6], s[8:9], v[5:6]
	s_wait_alu 0xfffd
	v_cndmask_b32_e32 v9, v9, v14, vcc_lo
	v_add_co_u32 v7, vcc_lo, v10, s2
	s_wait_alu 0xfffd
	v_add_co_ci_u32_e32 v8, vcc_lo, s3, v11, vcc_lo
	v_cmp_ne_u32_e32 vcc_lo, v1, v21
	v_and_or_b32 v11, 0x8000, v18, v12
	v_add_nc_u32_e32 v18, 0xfffffc10, v22
	v_and_or_b32 v17, 0x8000, v13, v9
	v_lshrrev_b32_e32 v13, 8, v4
	s_wait_alu 0xfffd
	v_cndmask_b32_e64 v1, 0, 1, vcc_lo
	v_cmp_ne_u32_e32 vcc_lo, 0, v3
	v_bfe_u32 v14, v4, 20, 11
	v_lshl_or_b32 v12, v18, 12, v15
	v_lshrrev_b32_e32 v22, 16, v16
	v_or_b32_e32 v1, v23, v1
	s_wait_alu 0xfffd
	v_cndmask_b32_e64 v3, 0, 1, vcc_lo
	v_cmp_gt_i32_e32 vcc_lo, 1, v18
	v_and_b32_e32 v23, 0xffff, v11
	v_mul_f16_e32 v11, v35, v22
	v_cmp_eq_u32_e64 s1, 0x40f, v18
	v_and_or_b32 v3, 0xffe, v13, v3
	v_sub_nc_u32_e32 v13, 0x3f1, v14
	s_wait_alu 0xfffd
	v_cndmask_b32_e32 v12, v12, v1, vcc_lo
	v_cvt_f64_f32_e32 v[0:1], v0
	v_fmac_f16_e32 v11, v34, v16
	v_or_b32_e32 v21, 0x1000, v3
	v_med3_i32 v13, v13, 0, 13
	v_and_b32_e32 v20, 7, v12
	v_lshrrev_b32_e32 v12, 2, v12
	v_cvt_f32_f16_e32 v11, v11
	v_mad_co_u64_u32 v[9:10], null, 0xfffff8c8, s4, v[7:8]
	v_lshrrev_b32_e32 v24, v13, v21
	v_cmp_lt_i32_e32 vcc_lo, 5, v20
	v_cmp_eq_u32_e64 s0, 3, v20
	v_and_or_b32 v5, 0x1ff, v6, v5
	v_lshrrev_b32_e32 v4, 16, v4
	v_lshlrev_b32_e32 v13, v13, v24
	s_delay_alu instid0(VALU_DEP_4) | instskip(SKIP_2) | instid1(VALU_DEP_2)
	s_or_b32 vcc_lo, s0, vcc_lo
	s_wait_alu 0xfffe
	v_add_co_ci_u32_e32 v20, vcc_lo, 0, v12, vcc_lo
	v_cmp_ne_u32_e32 vcc_lo, v13, v21
	v_add_nc_u32_e32 v21, 0xfffffc10, v14
	v_mul_f16_e32 v14, v35, v16
	v_cvt_f64_f32_e32 v[11:12], v11
	v_lshrrev_b32_e32 v16, 8, v6
	s_wait_alu 0xfffd
	v_cndmask_b32_e64 v13, 0, 1, vcc_lo
	v_cmp_ne_u32_e32 vcc_lo, 0, v5
	v_fma_f16 v14, v34, v22, -v14
	v_bfe_u32 v22, v6, 20, 11
	v_lshrrev_b32_e32 v6, 16, v6
	v_or_b32_e32 v13, v24, v13
	s_wait_alu 0xfffd
	v_cndmask_b32_e64 v5, 0, 1, vcc_lo
	v_lshl_or_b32 v24, v21, 12, v3
	v_cmp_gt_i32_e32 vcc_lo, 1, v21
	v_sub_nc_u32_e32 v25, 0x3f1, v22
	s_delay_alu instid0(VALU_DEP_4)
	v_and_or_b32 v16, 0xffe, v16, v5
	v_cvt_f32_f16_e32 v5, v14
	s_wait_alu 0xfffd
	v_cndmask_b32_e32 v24, v24, v13, vcc_lo
	v_cmp_ne_u32_e32 vcc_lo, 0, v15
	v_mul_f64_e32 v[0:1], s[8:9], v[0:1]
	v_or_b32_e32 v26, 0x1000, v16
	v_cvt_f64_f32_e32 v[13:14], v5
	v_med3_i32 v5, v25, 0, 13
	s_wait_alu 0xfffd
	v_cndmask_b32_e64 v15, 0, 1, vcc_lo
	v_and_b32_e32 v25, 7, v24
	v_cmp_gt_i32_e32 vcc_lo, 31, v18
	v_lshrrev_b32_e32 v24, 2, v24
	v_lshrrev_b32_e32 v27, v5, v26
	v_lshl_or_b32 v15, v15, 9, 0x7c00
	v_cmp_eq_u32_e64 s0, 3, v25
	s_wait_alu 0xfffd
	v_cndmask_b32_e32 v20, 0x7c00, v20, vcc_lo
	v_cmp_lt_i32_e32 vcc_lo, 5, v25
	v_lshlrev_b32_e32 v5, v5, v27
	s_delay_alu instid0(VALU_DEP_3)
	v_cndmask_b32_e64 v15, v20, v15, s1
	s_or_b32 vcc_lo, s0, vcc_lo
	v_add_nc_u32_e32 v20, 0xfffffc10, v22
	s_wait_alu 0xfffe
	v_add_co_ci_u32_e32 v18, vcc_lo, 0, v24, vcc_lo
	v_cmp_ne_u32_e32 vcc_lo, v5, v26
	v_mul_f64_e32 v[11:12], s[8:9], v[11:12]
	v_lshl_or_b32 v22, v20, 12, v16
	v_and_or_b32 v15, 0x8000, v2, v15
	s_wait_alu 0xfffd
	v_cndmask_b32_e64 v5, 0, 1, vcc_lo
	v_cmp_ne_u32_e32 vcc_lo, 0, v3
	s_delay_alu instid0(VALU_DEP_2) | instskip(SKIP_3) | instid1(VALU_DEP_2)
	v_or_b32_e32 v5, v27, v5
	s_wait_alu 0xfffd
	v_cndmask_b32_e64 v3, 0, 1, vcc_lo
	v_cmp_gt_i32_e32 vcc_lo, 31, v21
	v_lshl_or_b32 v3, v3, 9, 0x7c00
	s_wait_alu 0xfffd
	v_cndmask_b32_e32 v18, 0x7c00, v18, vcc_lo
	v_cmp_gt_i32_e32 vcc_lo, 1, v20
	v_and_or_b32 v0, 0x1ff, v1, v0
	s_wait_alu 0xfffd
	v_cndmask_b32_e32 v22, v22, v5, vcc_lo
	v_cmp_eq_u32_e32 vcc_lo, 0x40f, v21
	v_add_nc_u32_e32 v10, s5, v10
	v_cmp_ne_u32_e64 s1, 0, v0
	s_delay_alu instid0(VALU_DEP_4)
	v_lshrrev_b32_e32 v21, 2, v22
	s_wait_alu 0xfffd
	v_cndmask_b32_e32 v5, v18, v3, vcc_lo
	v_mul_f64_e32 v[2:3], s[8:9], v[13:14]
	v_and_b32_e32 v18, 7, v22
	v_and_b32_e32 v14, 0xffff, v15
	s_wait_alu 0xf1ff
	v_cndmask_b32_e64 v0, 0, 1, s1
	v_lshrrev_b32_e32 v15, 8, v1
	v_and_or_b32 v13, 0x8000, v4, v5
	v_cmp_lt_i32_e32 vcc_lo, 5, v18
	v_cmp_eq_u32_e64 s0, 3, v18
	v_bfe_u32 v18, v1, 20, 11
	v_and_or_b32 v0, 0xffe, v15, v0
	v_and_or_b32 v11, 0x1ff, v12, v11
	v_lshrrev_b32_e32 v25, 8, v12
	s_or_b32 vcc_lo, s0, vcc_lo
	v_sub_nc_u32_e32 v15, 0x3f1, v18
	s_wait_alu 0xfffe
	v_add_co_ci_u32_e32 v21, vcc_lo, 0, v21, vcc_lo
	v_cmp_ne_u32_e32 vcc_lo, 0, v16
	v_or_b32_e32 v22, 0x1000, v0
	v_med3_i32 v15, v15, 0, 13
	v_bfe_u32 v26, v12, 20, 11
	v_add_nc_u32_e32 v18, 0xfffffc10, v18
	s_wait_alu 0xfffd
	v_cndmask_b32_e64 v16, 0, 1, vcc_lo
	v_cmp_gt_i32_e32 vcc_lo, 31, v20
	v_lshrrev_b32_e32 v24, v15, v22
	v_add_co_u32 v4, s1, v9, s2
	s_delay_alu instid0(VALU_DEP_4)
	v_lshl_or_b32 v16, v16, 9, 0x7c00
	s_wait_alu 0xfffd
	v_cndmask_b32_e32 v21, 0x7c00, v21, vcc_lo
	v_cmp_ne_u32_e32 vcc_lo, 0, v11
	v_lshlrev_b32_e32 v15, v15, v24
	s_wait_alu 0xf1ff
	v_add_co_ci_u32_e64 v5, s1, s3, v10, s1
	v_lshrrev_b32_e32 v12, 16, v12
	s_wait_alu 0xfffd
	v_cndmask_b32_e64 v11, 0, 1, vcc_lo
	v_cmp_eq_u32_e32 vcc_lo, 0x40f, v20
	v_sub_nc_u32_e32 v20, 0x3f1, v26
	v_lshl_or_b32 v13, v13, 16, v14
	s_delay_alu instid0(VALU_DEP_4)
	v_and_or_b32 v11, 0xffe, v25, v11
	s_wait_alu 0xfffd
	v_cndmask_b32_e32 v16, v21, v16, vcc_lo
	v_and_or_b32 v2, 0x1ff, v3, v2
	v_cmp_ne_u32_e32 vcc_lo, v15, v22
	v_med3_i32 v20, v20, 0, 13
	v_or_b32_e32 v21, 0x1000, v11
	v_lshrrev_b32_e32 v22, 8, v3
	v_bfe_u32 v25, v3, 20, 11
	s_wait_alu 0xfffd
	v_cndmask_b32_e64 v15, 0, 1, vcc_lo
	v_cmp_ne_u32_e32 vcc_lo, 0, v2
	v_lshrrev_b32_e32 v27, v20, v21
	v_and_or_b32 v6, 0x8000, v6, v16
	v_lshrrev_b32_e32 v3, 16, v3
	v_or_b32_e32 v15, v24, v15
	s_wait_alu 0xfffd
	v_cndmask_b32_e64 v2, 0, 1, vcc_lo
	v_lshl_or_b32 v24, v18, 12, v0
	v_cmp_gt_i32_e32 vcc_lo, 1, v18
	v_lshlrev_b32_e32 v20, v20, v27
	v_and_b32_e32 v6, 0xffff, v6
	v_and_or_b32 v2, 0xffe, v22, v2
	v_sub_nc_u32_e32 v22, 0x3f1, v25
	s_wait_alu 0xfffd
	v_cndmask_b32_e32 v15, v24, v15, vcc_lo
	v_cmp_ne_u32_e32 vcc_lo, v20, v21
	v_add_nc_u32_e32 v21, 0xfffffc10, v26
	v_or_b32_e32 v24, 0x1000, v2
	v_med3_i32 v22, v22, 0, 13
	v_and_b32_e32 v28, 7, v15
	s_wait_alu 0xfffd
	v_cndmask_b32_e64 v20, 0, 1, vcc_lo
	v_lshrrev_b32_e32 v15, 2, v15
	v_cmp_gt_i32_e64 s1, 1, v21
	v_lshrrev_b32_e32 v26, v22, v24
	v_cmp_lt_i32_e32 vcc_lo, 5, v28
	v_cmp_eq_u32_e64 s0, 3, v28
	v_or_b32_e32 v16, v27, v20
	v_lshl_or_b32 v20, v21, 12, v11
	s_delay_alu instid0(VALU_DEP_3)
	s_or_b32 vcc_lo, s0, vcc_lo
	s_wait_alu 0xfffe
	v_add_co_ci_u32_e32 v15, vcc_lo, 0, v15, vcc_lo
	v_cmp_ne_u32_e32 vcc_lo, 0, v0
	v_cndmask_b32_e64 v16, v20, v16, s1
	s_wait_alu 0xfffd
	v_cndmask_b32_e64 v0, 0, 1, vcc_lo
	s_delay_alu instid0(VALU_DEP_1) | instskip(SKIP_1) | instid1(VALU_DEP_1)
	v_lshl_or_b32 v0, v0, 9, 0x7c00
	v_lshlrev_b32_e32 v22, v22, v26
	v_cmp_ne_u32_e64 s1, v22, v24
	v_add_nc_u32_e32 v22, 0xfffffc10, v25
	v_and_b32_e32 v24, 7, v16
	v_lshrrev_b32_e32 v16, 2, v16
	s_wait_alu 0xf1ff
	v_cndmask_b32_e64 v20, 0, 1, s1
	v_lshl_or_b32 v25, v22, 12, v2
	v_cmp_gt_i32_e64 s1, 1, v22
	v_cmp_lt_i32_e32 vcc_lo, 5, v24
	v_cmp_eq_u32_e64 s0, 3, v24
	v_or_b32_e32 v20, v26, v20
	s_delay_alu instid0(VALU_DEP_2) | instskip(NEXT) | instid1(VALU_DEP_1)
	s_or_b32 vcc_lo, s0, vcc_lo
	v_cndmask_b32_e64 v20, v25, v20, s1
	s_wait_alu 0xfffe
	v_add_co_ci_u32_e32 v16, vcc_lo, 0, v16, vcc_lo
	v_cmp_ne_u32_e32 vcc_lo, 0, v11
	v_cmp_gt_i32_e64 s1, 31, v18
	v_and_b32_e32 v24, 7, v20
	v_lshrrev_b32_e32 v20, 2, v20
	s_wait_alu 0xfffd
	v_cndmask_b32_e64 v11, 0, 1, vcc_lo
	s_wait_alu 0xf1ff
	v_cndmask_b32_e64 v15, 0x7c00, v15, s1
	v_cmp_lt_i32_e32 vcc_lo, 5, v24
	v_cmp_eq_u32_e64 s0, 3, v24
	v_cmp_gt_i32_e64 s1, 31, v21
	v_lshl_or_b32 v11, v11, 9, 0x7c00
	s_delay_alu instid0(VALU_DEP_3) | instskip(NEXT) | instid1(VALU_DEP_2)
	s_or_b32 vcc_lo, s0, vcc_lo
	v_cndmask_b32_e64 v16, 0x7c00, v16, s1
	s_wait_alu 0xfffe
	v_add_co_ci_u32_e32 v20, vcc_lo, 0, v20, vcc_lo
	v_cmp_ne_u32_e32 vcc_lo, 0, v2
	s_wait_alu 0xfffd
	v_cndmask_b32_e64 v2, 0, 1, vcc_lo
	v_cmp_eq_u32_e32 vcc_lo, 0x40f, v21
	s_delay_alu instid0(VALU_DEP_2) | instskip(SKIP_3) | instid1(VALU_DEP_2)
	v_lshl_or_b32 v2, v2, 9, 0x7c00
	s_wait_alu 0xfffd
	v_cndmask_b32_e32 v11, v16, v11, vcc_lo
	v_cmp_gt_i32_e32 vcc_lo, 31, v22
	v_and_or_b32 v11, 0x8000, v12, v11
	s_wait_alu 0xfffd
	v_cndmask_b32_e32 v16, 0x7c00, v20, vcc_lo
	v_cmp_eq_u32_e32 vcc_lo, 0x40f, v18
	v_lshrrev_b32_e32 v18, 16, v1
	s_wait_alu 0xfffd
	v_cndmask_b32_e32 v15, v15, v0, vcc_lo
	v_cmp_eq_u32_e32 vcc_lo, 0x40f, v22
	v_mad_co_u64_u32 v[0:1], null, 0xfffff8c8, s4, v[4:5]
	s_delay_alu instid0(VALU_DEP_3) | instskip(SKIP_1) | instid1(VALU_DEP_2)
	v_and_or_b32 v12, 0x8000, v18, v15
	s_wait_alu 0xfffd
	v_dual_cndmask_b32 v2, v16, v2 :: v_dual_add_nc_u32 v1, s5, v1
	s_delay_alu instid0(VALU_DEP_1) | instskip(SKIP_3) | instid1(VALU_DEP_3)
	v_and_or_b32 v2, 0x8000, v3, v2
	v_and_b32_e32 v3, 0xffff, v11
	v_lshl_or_b32 v11, v17, 16, v23
	v_lshl_or_b32 v6, v12, 16, v6
	;; [unrolled: 1-line block ×3, first 2 shown]
	v_add_co_u32 v2, vcc_lo, v0, s2
	s_wait_alu 0xfffd
	v_add_co_ci_u32_e32 v3, vcc_lo, s3, v1, vcc_lo
	s_clause 0x3
	global_store_b32 v[7:8], v19, off
	global_store_b32 v[9:10], v11, off
	;; [unrolled: 1-line block ×5, first 2 shown]
.LBB0_18:
	s_nop 0
	s_sendmsg sendmsg(MSG_DEALLOC_VGPRS)
	s_endpgm
	.section	.rodata,"a",@progbits
	.p2align	6, 0x0
	.amdhsa_kernel bluestein_single_back_len1386_dim1_half_op_CI_CI
		.amdhsa_group_segment_fixed_size 5544
		.amdhsa_private_segment_fixed_size 0
		.amdhsa_kernarg_size 104
		.amdhsa_user_sgpr_count 2
		.amdhsa_user_sgpr_dispatch_ptr 0
		.amdhsa_user_sgpr_queue_ptr 0
		.amdhsa_user_sgpr_kernarg_segment_ptr 1
		.amdhsa_user_sgpr_dispatch_id 0
		.amdhsa_user_sgpr_private_segment_size 0
		.amdhsa_wavefront_size32 1
		.amdhsa_uses_dynamic_stack 0
		.amdhsa_enable_private_segment 0
		.amdhsa_system_sgpr_workgroup_id_x 1
		.amdhsa_system_sgpr_workgroup_id_y 0
		.amdhsa_system_sgpr_workgroup_id_z 0
		.amdhsa_system_sgpr_workgroup_info 0
		.amdhsa_system_vgpr_workitem_id 0
		.amdhsa_next_free_vgpr 198
		.amdhsa_next_free_sgpr 20
		.amdhsa_reserve_vcc 1
		.amdhsa_float_round_mode_32 0
		.amdhsa_float_round_mode_16_64 0
		.amdhsa_float_denorm_mode_32 3
		.amdhsa_float_denorm_mode_16_64 3
		.amdhsa_fp16_overflow 0
		.amdhsa_workgroup_processor_mode 1
		.amdhsa_memory_ordered 1
		.amdhsa_forward_progress 0
		.amdhsa_round_robin_scheduling 0
		.amdhsa_exception_fp_ieee_invalid_op 0
		.amdhsa_exception_fp_denorm_src 0
		.amdhsa_exception_fp_ieee_div_zero 0
		.amdhsa_exception_fp_ieee_overflow 0
		.amdhsa_exception_fp_ieee_underflow 0
		.amdhsa_exception_fp_ieee_inexact 0
		.amdhsa_exception_int_div_zero 0
	.end_amdhsa_kernel
	.text
.Lfunc_end0:
	.size	bluestein_single_back_len1386_dim1_half_op_CI_CI, .Lfunc_end0-bluestein_single_back_len1386_dim1_half_op_CI_CI
                                        ; -- End function
	.section	.AMDGPU.csdata,"",@progbits
; Kernel info:
; codeLenInByte = 15668
; NumSgprs: 22
; NumVgprs: 198
; ScratchSize: 0
; MemoryBound: 0
; FloatMode: 240
; IeeeMode: 1
; LDSByteSize: 5544 bytes/workgroup (compile time only)
; SGPRBlocks: 2
; VGPRBlocks: 24
; NumSGPRsForWavesPerEU: 22
; NumVGPRsForWavesPerEU: 198
; Occupancy: 7
; WaveLimiterHint : 1
; COMPUTE_PGM_RSRC2:SCRATCH_EN: 0
; COMPUTE_PGM_RSRC2:USER_SGPR: 2
; COMPUTE_PGM_RSRC2:TRAP_HANDLER: 0
; COMPUTE_PGM_RSRC2:TGID_X_EN: 1
; COMPUTE_PGM_RSRC2:TGID_Y_EN: 0
; COMPUTE_PGM_RSRC2:TGID_Z_EN: 0
; COMPUTE_PGM_RSRC2:TIDIG_COMP_CNT: 0
	.text
	.p2alignl 7, 3214868480
	.fill 96, 4, 3214868480
	.type	__hip_cuid_10c69b35a405afab,@object ; @__hip_cuid_10c69b35a405afab
	.section	.bss,"aw",@nobits
	.globl	__hip_cuid_10c69b35a405afab
__hip_cuid_10c69b35a405afab:
	.byte	0                               ; 0x0
	.size	__hip_cuid_10c69b35a405afab, 1

	.ident	"AMD clang version 19.0.0git (https://github.com/RadeonOpenCompute/llvm-project roc-6.4.0 25133 c7fe45cf4b819c5991fe208aaa96edf142730f1d)"
	.section	".note.GNU-stack","",@progbits
	.addrsig
	.addrsig_sym __hip_cuid_10c69b35a405afab
	.amdgpu_metadata
---
amdhsa.kernels:
  - .args:
      - .actual_access:  read_only
        .address_space:  global
        .offset:         0
        .size:           8
        .value_kind:     global_buffer
      - .actual_access:  read_only
        .address_space:  global
        .offset:         8
        .size:           8
        .value_kind:     global_buffer
      - .actual_access:  read_only
        .address_space:  global
        .offset:         16
        .size:           8
        .value_kind:     global_buffer
      - .actual_access:  read_only
        .address_space:  global
        .offset:         24
        .size:           8
        .value_kind:     global_buffer
      - .actual_access:  read_only
        .address_space:  global
        .offset:         32
        .size:           8
        .value_kind:     global_buffer
      - .offset:         40
        .size:           8
        .value_kind:     by_value
      - .address_space:  global
        .offset:         48
        .size:           8
        .value_kind:     global_buffer
      - .address_space:  global
        .offset:         56
        .size:           8
        .value_kind:     global_buffer
      - .address_space:  global
        .offset:         64
        .size:           8
        .value_kind:     global_buffer
      - .address_space:  global
        .offset:         72
        .size:           8
        .value_kind:     global_buffer
      - .offset:         80
        .size:           4
        .value_kind:     by_value
      - .address_space:  global
        .offset:         88
        .size:           8
        .value_kind:     global_buffer
      - .address_space:  global
        .offset:         96
        .size:           8
        .value_kind:     global_buffer
    .group_segment_fixed_size: 5544
    .kernarg_segment_align: 8
    .kernarg_segment_size: 104
    .language:       OpenCL C
    .language_version:
      - 2
      - 0
    .max_flat_workgroup_size: 231
    .name:           bluestein_single_back_len1386_dim1_half_op_CI_CI
    .private_segment_fixed_size: 0
    .sgpr_count:     22
    .sgpr_spill_count: 0
    .symbol:         bluestein_single_back_len1386_dim1_half_op_CI_CI.kd
    .uniform_work_group_size: 1
    .uses_dynamic_stack: false
    .vgpr_count:     198
    .vgpr_spill_count: 0
    .wavefront_size: 32
    .workgroup_processor_mode: 1
amdhsa.target:   amdgcn-amd-amdhsa--gfx1201
amdhsa.version:
  - 1
  - 2
...

	.end_amdgpu_metadata
